;; amdgpu-corpus repo=zjin-lcf/HeCBench kind=compiled arch=gfx906 opt=O3
	.amdgcn_target "amdgcn-amd-amdhsa--gfx906"
	.amdhsa_code_object_version 6
	.section	.text._Z12geglu_kernelIffLi160ELi1280ELi8ELi1EEvPT_PKS0_,"axG",@progbits,_Z12geglu_kernelIffLi160ELi1280ELi8ELi1EEvPT_PKS0_,comdat
	.protected	_Z12geglu_kernelIffLi160ELi1280ELi8ELi1EEvPT_PKS0_ ; -- Begin function _Z12geglu_kernelIffLi160ELi1280ELi8ELi1EEvPT_PKS0_
	.globl	_Z12geglu_kernelIffLi160ELi1280ELi8ELi1EEvPT_PKS0_
	.p2align	8
	.type	_Z12geglu_kernelIffLi160ELi1280ELi8ELi1EEvPT_PKS0_,@function
_Z12geglu_kernelIffLi160ELi1280ELi8ELi1EEvPT_PKS0_: ; @_Z12geglu_kernelIffLi160ELi1280ELi8ELi1EEvPT_PKS0_
; %bb.0:
	s_load_dwordx4 s[0:3], s[4:5], 0x0
	s_lshl_b32 s7, s6, 1
	s_mul_i32 s4, s6, 0x2800
	s_mul_hi_i32 s5, s7, 0x1400
	v_lshlrev_b32_e32 v17, 5, v0
	s_waitcnt lgkmcnt(0)
	s_add_u32 s4, s2, s4
	s_addc_u32 s5, s3, s5
	s_or_b32 s7, s7, 1
	s_mul_hi_i32 s8, s7, 0x1400
	s_mulk_i32 s7, 0x1400
	s_add_u32 s2, s2, s7
	s_addc_u32 s3, s3, s8
	global_load_dwordx4 v[5:8], v17, s[2:3] offset:16
	global_load_dwordx4 v[13:16], v17, s[2:3]
	global_load_dwordx4 v[1:4], v17, s[4:5] offset:16
	global_load_dwordx4 v[9:12], v17, s[4:5]
                                        ; implicit-def: $vgpr18
	s_waitcnt vmcnt(2)
	v_mul_f32_e32 v17, 0x3f3504f3, v13
	v_cmp_nlt_f32_e64 s[2:3], |v17|, 1.0
	s_and_saveexec_b64 s[4:5], s[2:3]
	s_xor_b64 s[2:3], exec, s[4:5]
	s_cbranch_execz .LBB0_2
; %bb.1:
	s_mov_b32 s4, 0x378e98ab
	v_mov_b32_e32 v18, 0xb9c68948
	v_fma_f32 v18, |v17|, s4, v18
	s_mov_b32 s4, 0x3b7cd369
	v_fma_f32 v18, |v17|, v18, s4
	s_mov_b32 s4, 0xbcc618b2
	v_fma_f32 v18, |v17|, v18, s4
	s_mov_b32 s4, 0x3dda74e4
	v_fma_f32 v18, |v17|, v18, s4
	s_mov_b32 s4, 0x3f228afd
	v_fma_f32 v18, |v17|, v18, s4
	s_mov_b32 s4, 0x3e03c728
	v_fma_f32 v18, |v17|, v18, s4
	v_fma_f32 v18, |v17|, v18, |v17|
	s_mov_b32 s4, 0xbfb8aa3b
	v_mul_f32_e32 v19, 0xbfb8aa3b, v18
	v_fma_f32 v20, v18, s4, -v19
	v_rndne_f32_e32 v21, v19
	v_fmac_f32_e32 v20, 0xb2a5705f, v18
	v_sub_f32_e32 v19, v19, v21
	v_add_f32_e32 v19, v19, v20
	v_exp_f32_e32 v19, v19
	v_cvt_i32_f32_e32 v20, v21
	s_mov_b32 s4, 0x42ce8ed0
	v_cmp_nlt_f32_e32 vcc, s4, v18
	s_mov_b32 s4, 0xc2b17218
	v_ldexp_f32 v19, v19, v20
	v_cndmask_b32_e32 v19, 0, v19, vcc
	v_mov_b32_e32 v20, 0x7f800000
	v_cmp_ngt_f32_e32 vcc, s4, v18
	v_cndmask_b32_e32 v18, v20, v19, vcc
	v_sub_f32_e32 v18, 1.0, v18
.LBB0_2:
	s_andn2_saveexec_b64 s[2:3], s[2:3]
	s_cbranch_execz .LBB0_4
; %bb.3:
	v_mul_f32_e32 v18, v17, v17
	v_mov_b32_e32 v19, 0x3ba10414
	v_fmac_f32_e32 v19, 0xba1345e1, v18
	v_mov_b32_e32 v20, 0xbcdac9b8
	v_fmac_f32_e32 v20, v18, v19
	;; [unrolled: 2-line block ×5, first 2 shown]
	v_fma_f32 v18, |v17|, v19, |v17|
.LBB0_4:
	s_or_b64 exec, exec, s[2:3]
	v_mul_f32_e32 v19, 0x3f3504f3, v14
	v_cmp_nlt_f32_e64 s[2:3], |v19|, 1.0
                                        ; implicit-def: $vgpr20
	s_and_saveexec_b64 s[4:5], s[2:3]
	s_xor_b64 s[2:3], exec, s[4:5]
	s_cbranch_execz .LBB0_6
; %bb.5:
	s_mov_b32 s4, 0x378e98ab
	v_mov_b32_e32 v20, 0xb9c68948
	v_fma_f32 v20, |v19|, s4, v20
	s_mov_b32 s4, 0x3b7cd369
	v_fma_f32 v20, |v19|, v20, s4
	s_mov_b32 s4, 0xbcc618b2
	;; [unrolled: 2-line block ×5, first 2 shown]
	v_fma_f32 v20, |v19|, v20, s4
	v_fma_f32 v20, |v19|, v20, |v19|
	s_mov_b32 s4, 0xbfb8aa3b
	v_mul_f32_e32 v21, 0xbfb8aa3b, v20
	v_fma_f32 v22, v20, s4, -v21
	v_rndne_f32_e32 v23, v21
	v_fmac_f32_e32 v22, 0xb2a5705f, v20
	v_sub_f32_e32 v21, v21, v23
	v_add_f32_e32 v21, v21, v22
	v_exp_f32_e32 v21, v21
	v_cvt_i32_f32_e32 v22, v23
	s_mov_b32 s4, 0x42ce8ed0
	v_cmp_nlt_f32_e32 vcc, s4, v20
	s_mov_b32 s4, 0xc2b17218
	v_ldexp_f32 v21, v21, v22
	v_cndmask_b32_e32 v21, 0, v21, vcc
	v_mov_b32_e32 v22, 0x7f800000
	v_cmp_ngt_f32_e32 vcc, s4, v20
	v_cndmask_b32_e32 v20, v22, v21, vcc
	v_sub_f32_e32 v20, 1.0, v20
.LBB0_6:
	s_andn2_saveexec_b64 s[2:3], s[2:3]
	s_cbranch_execz .LBB0_8
; %bb.7:
	v_mul_f32_e32 v20, v19, v19
	v_mov_b32_e32 v21, 0x3ba10414
	v_fmac_f32_e32 v21, 0xba1345e1, v20
	v_mov_b32_e32 v22, 0xbcdac9b8
	v_fmac_f32_e32 v22, v20, v21
	;; [unrolled: 2-line block ×5, first 2 shown]
	v_fma_f32 v20, |v19|, v21, |v19|
.LBB0_8:
	s_or_b64 exec, exec, s[2:3]
	v_mul_f32_e32 v21, 0x3f3504f3, v15
	v_cmp_nlt_f32_e64 s[2:3], |v21|, 1.0
                                        ; implicit-def: $vgpr22
	s_and_saveexec_b64 s[4:5], s[2:3]
	s_xor_b64 s[2:3], exec, s[4:5]
	s_cbranch_execz .LBB0_10
; %bb.9:
	s_mov_b32 s4, 0x378e98ab
	v_mov_b32_e32 v22, 0xb9c68948
	v_fma_f32 v22, |v21|, s4, v22
	s_mov_b32 s4, 0x3b7cd369
	v_fma_f32 v22, |v21|, v22, s4
	s_mov_b32 s4, 0xbcc618b2
	;; [unrolled: 2-line block ×5, first 2 shown]
	v_fma_f32 v22, |v21|, v22, s4
	v_fma_f32 v22, |v21|, v22, |v21|
	s_mov_b32 s4, 0xbfb8aa3b
	v_mul_f32_e32 v23, 0xbfb8aa3b, v22
	v_fma_f32 v24, v22, s4, -v23
	v_rndne_f32_e32 v25, v23
	v_fmac_f32_e32 v24, 0xb2a5705f, v22
	v_sub_f32_e32 v23, v23, v25
	v_add_f32_e32 v23, v23, v24
	v_exp_f32_e32 v23, v23
	v_cvt_i32_f32_e32 v24, v25
	s_mov_b32 s4, 0x42ce8ed0
	v_cmp_nlt_f32_e32 vcc, s4, v22
	s_mov_b32 s4, 0xc2b17218
	v_ldexp_f32 v23, v23, v24
	v_cndmask_b32_e32 v23, 0, v23, vcc
	v_mov_b32_e32 v24, 0x7f800000
	v_cmp_ngt_f32_e32 vcc, s4, v22
	v_cndmask_b32_e32 v22, v24, v23, vcc
	v_sub_f32_e32 v22, 1.0, v22
.LBB0_10:
	s_andn2_saveexec_b64 s[2:3], s[2:3]
	s_cbranch_execz .LBB0_12
; %bb.11:
	v_mul_f32_e32 v22, v21, v21
	v_mov_b32_e32 v23, 0x3ba10414
	v_fmac_f32_e32 v23, 0xba1345e1, v22
	v_mov_b32_e32 v24, 0xbcdac9b8
	v_fmac_f32_e32 v24, v22, v23
	;; [unrolled: 2-line block ×5, first 2 shown]
	v_fma_f32 v22, |v21|, v23, |v21|
.LBB0_12:
	s_or_b64 exec, exec, s[2:3]
	v_mul_f32_e32 v23, 0x3f3504f3, v16
	v_cmp_nlt_f32_e64 s[2:3], |v23|, 1.0
                                        ; implicit-def: $vgpr24
	s_and_saveexec_b64 s[4:5], s[2:3]
	s_xor_b64 s[2:3], exec, s[4:5]
	s_cbranch_execz .LBB0_14
; %bb.13:
	s_mov_b32 s4, 0x378e98ab
	v_mov_b32_e32 v24, 0xb9c68948
	v_fma_f32 v24, |v23|, s4, v24
	s_mov_b32 s4, 0x3b7cd369
	v_fma_f32 v24, |v23|, v24, s4
	s_mov_b32 s4, 0xbcc618b2
	;; [unrolled: 2-line block ×5, first 2 shown]
	v_fma_f32 v24, |v23|, v24, s4
	v_fma_f32 v24, |v23|, v24, |v23|
	s_mov_b32 s4, 0xbfb8aa3b
	v_mul_f32_e32 v25, 0xbfb8aa3b, v24
	v_fma_f32 v26, v24, s4, -v25
	v_rndne_f32_e32 v27, v25
	v_fmac_f32_e32 v26, 0xb2a5705f, v24
	v_sub_f32_e32 v25, v25, v27
	v_add_f32_e32 v25, v25, v26
	v_exp_f32_e32 v25, v25
	v_cvt_i32_f32_e32 v26, v27
	s_mov_b32 s4, 0x42ce8ed0
	v_cmp_nlt_f32_e32 vcc, s4, v24
	s_mov_b32 s4, 0xc2b17218
	v_ldexp_f32 v25, v25, v26
	v_cndmask_b32_e32 v25, 0, v25, vcc
	v_mov_b32_e32 v26, 0x7f800000
	v_cmp_ngt_f32_e32 vcc, s4, v24
	v_cndmask_b32_e32 v24, v26, v25, vcc
	v_sub_f32_e32 v24, 1.0, v24
.LBB0_14:
	s_andn2_saveexec_b64 s[2:3], s[2:3]
	s_cbranch_execz .LBB0_16
; %bb.15:
	v_mul_f32_e32 v24, v23, v23
	v_mov_b32_e32 v25, 0x3ba10414
	v_fmac_f32_e32 v25, 0xba1345e1, v24
	v_mov_b32_e32 v26, 0xbcdac9b8
	v_fmac_f32_e32 v26, v24, v25
	v_mov_b32_e32 v25, 0x3de703be
	v_fmac_f32_e32 v25, v24, v26
	v_mov_b32_e32 v26, 0xbec09330
	v_fmac_f32_e32 v26, v24, v25
	v_mov_b32_e32 v25, 0x3e0375d0
	v_fmac_f32_e32 v25, v24, v26
	v_fma_f32 v24, |v23|, v25, |v23|
.LBB0_16:
	s_or_b64 exec, exec, s[2:3]
	v_mul_f32_e32 v25, 0x3f3504f3, v5
	v_cmp_nlt_f32_e64 s[2:3], |v25|, 1.0
                                        ; implicit-def: $vgpr26
	s_and_saveexec_b64 s[4:5], s[2:3]
	s_xor_b64 s[2:3], exec, s[4:5]
	s_cbranch_execz .LBB0_18
; %bb.17:
	s_mov_b32 s4, 0x378e98ab
	v_mov_b32_e32 v26, 0xb9c68948
	v_fma_f32 v26, |v25|, s4, v26
	s_mov_b32 s4, 0x3b7cd369
	v_fma_f32 v26, |v25|, v26, s4
	s_mov_b32 s4, 0xbcc618b2
	;; [unrolled: 2-line block ×5, first 2 shown]
	v_fma_f32 v26, |v25|, v26, s4
	v_fma_f32 v26, |v25|, v26, |v25|
	s_mov_b32 s4, 0xbfb8aa3b
	v_mul_f32_e32 v27, 0xbfb8aa3b, v26
	v_fma_f32 v28, v26, s4, -v27
	v_rndne_f32_e32 v29, v27
	v_fmac_f32_e32 v28, 0xb2a5705f, v26
	v_sub_f32_e32 v27, v27, v29
	v_add_f32_e32 v27, v27, v28
	v_exp_f32_e32 v27, v27
	v_cvt_i32_f32_e32 v28, v29
	s_mov_b32 s4, 0x42ce8ed0
	v_cmp_nlt_f32_e32 vcc, s4, v26
	s_mov_b32 s4, 0xc2b17218
	v_ldexp_f32 v27, v27, v28
	v_cndmask_b32_e32 v27, 0, v27, vcc
	v_mov_b32_e32 v28, 0x7f800000
	v_cmp_ngt_f32_e32 vcc, s4, v26
	v_cndmask_b32_e32 v26, v28, v27, vcc
	v_sub_f32_e32 v26, 1.0, v26
.LBB0_18:
	s_andn2_saveexec_b64 s[2:3], s[2:3]
	s_cbranch_execz .LBB0_20
; %bb.19:
	v_mul_f32_e32 v26, v25, v25
	v_mov_b32_e32 v27, 0x3ba10414
	v_fmac_f32_e32 v27, 0xba1345e1, v26
	v_mov_b32_e32 v28, 0xbcdac9b8
	v_fmac_f32_e32 v28, v26, v27
	;; [unrolled: 2-line block ×5, first 2 shown]
	v_fma_f32 v26, |v25|, v27, |v25|
.LBB0_20:
	s_or_b64 exec, exec, s[2:3]
	v_mul_f32_e32 v27, 0x3f3504f3, v6
	v_cmp_nlt_f32_e64 s[2:3], |v27|, 1.0
                                        ; implicit-def: $vgpr28
	s_and_saveexec_b64 s[4:5], s[2:3]
	s_xor_b64 s[2:3], exec, s[4:5]
	s_cbranch_execz .LBB0_22
; %bb.21:
	s_mov_b32 s4, 0x378e98ab
	v_mov_b32_e32 v28, 0xb9c68948
	v_fma_f32 v28, |v27|, s4, v28
	s_mov_b32 s4, 0x3b7cd369
	v_fma_f32 v28, |v27|, v28, s4
	s_mov_b32 s4, 0xbcc618b2
	;; [unrolled: 2-line block ×5, first 2 shown]
	v_fma_f32 v28, |v27|, v28, s4
	v_fma_f32 v28, |v27|, v28, |v27|
	s_mov_b32 s4, 0xbfb8aa3b
	v_mul_f32_e32 v29, 0xbfb8aa3b, v28
	v_fma_f32 v30, v28, s4, -v29
	v_rndne_f32_e32 v31, v29
	v_fmac_f32_e32 v30, 0xb2a5705f, v28
	v_sub_f32_e32 v29, v29, v31
	v_add_f32_e32 v29, v29, v30
	v_exp_f32_e32 v29, v29
	v_cvt_i32_f32_e32 v30, v31
	s_mov_b32 s4, 0x42ce8ed0
	v_cmp_nlt_f32_e32 vcc, s4, v28
	s_mov_b32 s4, 0xc2b17218
	v_ldexp_f32 v29, v29, v30
	v_cndmask_b32_e32 v29, 0, v29, vcc
	v_mov_b32_e32 v30, 0x7f800000
	v_cmp_ngt_f32_e32 vcc, s4, v28
	v_cndmask_b32_e32 v28, v30, v29, vcc
	v_sub_f32_e32 v28, 1.0, v28
.LBB0_22:
	s_andn2_saveexec_b64 s[2:3], s[2:3]
	s_cbranch_execz .LBB0_24
; %bb.23:
	v_mul_f32_e32 v28, v27, v27
	v_mov_b32_e32 v29, 0x3ba10414
	v_fmac_f32_e32 v29, 0xba1345e1, v28
	v_mov_b32_e32 v30, 0xbcdac9b8
	v_fmac_f32_e32 v30, v28, v29
	;; [unrolled: 2-line block ×5, first 2 shown]
	v_fma_f32 v28, |v27|, v29, |v27|
.LBB0_24:
	s_or_b64 exec, exec, s[2:3]
	v_mul_f32_e32 v29, 0x3f3504f3, v7
	v_cmp_nlt_f32_e64 s[2:3], |v29|, 1.0
                                        ; implicit-def: $vgpr31
	s_and_saveexec_b64 s[4:5], s[2:3]
	s_xor_b64 s[2:3], exec, s[4:5]
	s_cbranch_execz .LBB0_26
; %bb.25:
	s_mov_b32 s4, 0x378e98ab
	v_mov_b32_e32 v30, 0xb9c68948
	v_fma_f32 v30, |v29|, s4, v30
	s_mov_b32 s4, 0x3b7cd369
	v_fma_f32 v30, |v29|, v30, s4
	s_mov_b32 s4, 0xbcc618b2
	;; [unrolled: 2-line block ×5, first 2 shown]
	v_fma_f32 v30, |v29|, v30, s4
	v_fma_f32 v30, |v29|, v30, |v29|
	s_mov_b32 s4, 0xbfb8aa3b
	v_mul_f32_e32 v31, 0xbfb8aa3b, v30
	v_fma_f32 v32, v30, s4, -v31
	v_rndne_f32_e32 v33, v31
	v_fmac_f32_e32 v32, 0xb2a5705f, v30
	v_sub_f32_e32 v31, v31, v33
	v_add_f32_e32 v31, v31, v32
	v_exp_f32_e32 v31, v31
	v_cvt_i32_f32_e32 v32, v33
	s_mov_b32 s4, 0x42ce8ed0
	v_cmp_nlt_f32_e32 vcc, s4, v30
	s_mov_b32 s4, 0xc2b17218
	v_ldexp_f32 v31, v31, v32
	v_cndmask_b32_e32 v31, 0, v31, vcc
	v_mov_b32_e32 v32, 0x7f800000
	v_cmp_ngt_f32_e32 vcc, s4, v30
	v_cndmask_b32_e32 v30, v32, v31, vcc
	v_sub_f32_e32 v31, 1.0, v30
.LBB0_26:
	s_andn2_saveexec_b64 s[2:3], s[2:3]
	s_cbranch_execz .LBB0_28
; %bb.27:
	v_mul_f32_e32 v30, v29, v29
	v_mov_b32_e32 v31, 0x3ba10414
	v_fmac_f32_e32 v31, 0xba1345e1, v30
	v_mov_b32_e32 v32, 0xbcdac9b8
	v_fmac_f32_e32 v32, v30, v31
	;; [unrolled: 2-line block ×5, first 2 shown]
	v_fma_f32 v31, |v29|, v31, |v29|
.LBB0_28:
	s_or_b64 exec, exec, s[2:3]
	v_mul_f32_e32 v30, 0x3f3504f3, v8
	v_lshlrev_b32_e32 v0, 3, v0
	v_cmp_nlt_f32_e64 s[2:3], |v30|, 1.0
                                        ; implicit-def: $vgpr32
	s_and_saveexec_b64 s[4:5], s[2:3]
	s_xor_b64 s[2:3], exec, s[4:5]
	s_cbranch_execz .LBB0_30
; %bb.29:
	s_mov_b32 s4, 0x378e98ab
	v_mov_b32_e32 v32, 0xb9c68948
	v_fma_f32 v32, |v30|, s4, v32
	s_mov_b32 s4, 0x3b7cd369
	v_fma_f32 v32, |v30|, v32, s4
	s_mov_b32 s4, 0xbcc618b2
	v_fma_f32 v32, |v30|, v32, s4
	s_mov_b32 s4, 0x3dda74e4
	v_fma_f32 v32, |v30|, v32, s4
	s_mov_b32 s4, 0x3f228afd
	v_fma_f32 v32, |v30|, v32, s4
	s_mov_b32 s4, 0x3e03c728
	v_fma_f32 v32, |v30|, v32, s4
	v_fma_f32 v32, |v30|, v32, |v30|
	s_mov_b32 s4, 0xbfb8aa3b
	v_mul_f32_e32 v33, 0xbfb8aa3b, v32
	v_fma_f32 v34, v32, s4, -v33
	v_rndne_f32_e32 v35, v33
	v_fmac_f32_e32 v34, 0xb2a5705f, v32
	v_sub_f32_e32 v33, v33, v35
	v_add_f32_e32 v33, v33, v34
	v_exp_f32_e32 v33, v33
	v_cvt_i32_f32_e32 v34, v35
	s_mov_b32 s4, 0x42ce8ed0
	v_cmp_nlt_f32_e32 vcc, s4, v32
	s_mov_b32 s4, 0xc2b17218
	v_ldexp_f32 v33, v33, v34
	v_cndmask_b32_e32 v33, 0, v33, vcc
	v_mov_b32_e32 v34, 0x7f800000
	v_cmp_ngt_f32_e32 vcc, s4, v32
	v_cndmask_b32_e32 v32, v34, v33, vcc
	v_sub_f32_e32 v32, 1.0, v32
.LBB0_30:
	s_andn2_saveexec_b64 s[2:3], s[2:3]
	s_cbranch_execz .LBB0_32
; %bb.31:
	v_mul_f32_e32 v32, v30, v30
	v_mov_b32_e32 v33, 0x3ba10414
	v_fmac_f32_e32 v33, 0xba1345e1, v32
	v_mov_b32_e32 v34, 0xbcdac9b8
	v_fmac_f32_e32 v34, v32, v33
	;; [unrolled: 2-line block ×5, first 2 shown]
	v_fma_f32 v32, |v30|, v33, |v30|
.LBB0_32:
	s_or_b64 exec, exec, s[2:3]
	s_brev_b32 s2, -2
	v_bfi_b32 v29, s2, v31, v29
	v_mul_f32_e32 v7, 0.5, v7
	v_add_f32_e32 v29, 1.0, v29
	v_mul_f32_e32 v7, v7, v29
	s_waitcnt vmcnt(1)
	v_mul_f32_e32 v3, v3, v7
	v_bfi_b32 v7, s2, v28, v27
	v_mul_f32_e32 v6, 0.5, v6
	v_add_f32_e32 v7, 1.0, v7
	v_mul_f32_e32 v6, v6, v7
	v_mul_f32_e32 v2, v2, v6
	v_bfi_b32 v6, s2, v26, v25
	v_mul_f32_e32 v5, 0.5, v5
	v_add_f32_e32 v6, 1.0, v6
	v_mul_f32_e32 v5, v5, v6
	v_bfi_b32 v6, s2, v24, v23
	v_mul_f32_e32 v1, v1, v5
	v_mul_f32_e32 v5, 0.5, v16
	v_add_f32_e32 v6, 1.0, v6
	v_mul_f32_e32 v5, v5, v6
	v_bfi_b32 v6, s2, v22, v21
	s_waitcnt vmcnt(0)
	v_mul_f32_e32 v12, v12, v5
	v_mul_f32_e32 v5, 0.5, v15
	v_add_f32_e32 v6, 1.0, v6
	v_mul_f32_e32 v5, v5, v6
	v_bfi_b32 v6, s2, v20, v19
	v_mul_f32_e32 v11, v11, v5
	v_mul_f32_e32 v5, 0.5, v14
	v_add_f32_e32 v6, 1.0, v6
	v_mul_f32_e32 v5, v5, v6
	v_bfi_b32 v6, s2, v18, v17
	;; [unrolled: 5-line block ×3, first 2 shown]
	s_mul_hi_i32 s2, s6, 0x1400
	s_mulk_i32 s6, 0x1400
	v_mul_f32_e32 v9, v9, v5
	v_mul_f32_e32 v5, 0.5, v8
	v_add_f32_e32 v6, 1.0, v6
	s_add_u32 s0, s0, s6
	v_mul_f32_e32 v5, v5, v6
	s_addc_u32 s1, s1, s2
	v_lshlrev_b32_e32 v0, 2, v0
	v_mul_f32_e32 v4, v4, v5
	global_store_dwordx4 v0, v[9:12], s[0:1]
	global_store_dwordx4 v0, v[1:4], s[0:1] offset:16
	s_endpgm
	.section	.rodata,"a",@progbits
	.p2align	6, 0x0
	.amdhsa_kernel _Z12geglu_kernelIffLi160ELi1280ELi8ELi1EEvPT_PKS0_
		.amdhsa_group_segment_fixed_size 0
		.amdhsa_private_segment_fixed_size 0
		.amdhsa_kernarg_size 16
		.amdhsa_user_sgpr_count 6
		.amdhsa_user_sgpr_private_segment_buffer 1
		.amdhsa_user_sgpr_dispatch_ptr 0
		.amdhsa_user_sgpr_queue_ptr 0
		.amdhsa_user_sgpr_kernarg_segment_ptr 1
		.amdhsa_user_sgpr_dispatch_id 0
		.amdhsa_user_sgpr_flat_scratch_init 0
		.amdhsa_user_sgpr_private_segment_size 0
		.amdhsa_uses_dynamic_stack 0
		.amdhsa_system_sgpr_private_segment_wavefront_offset 0
		.amdhsa_system_sgpr_workgroup_id_x 1
		.amdhsa_system_sgpr_workgroup_id_y 0
		.amdhsa_system_sgpr_workgroup_id_z 0
		.amdhsa_system_sgpr_workgroup_info 0
		.amdhsa_system_vgpr_workitem_id 0
		.amdhsa_next_free_vgpr 36
		.amdhsa_next_free_sgpr 9
		.amdhsa_reserve_vcc 1
		.amdhsa_reserve_flat_scratch 0
		.amdhsa_float_round_mode_32 0
		.amdhsa_float_round_mode_16_64 0
		.amdhsa_float_denorm_mode_32 3
		.amdhsa_float_denorm_mode_16_64 3
		.amdhsa_dx10_clamp 1
		.amdhsa_ieee_mode 1
		.amdhsa_fp16_overflow 0
		.amdhsa_exception_fp_ieee_invalid_op 0
		.amdhsa_exception_fp_denorm_src 0
		.amdhsa_exception_fp_ieee_div_zero 0
		.amdhsa_exception_fp_ieee_overflow 0
		.amdhsa_exception_fp_ieee_underflow 0
		.amdhsa_exception_fp_ieee_inexact 0
		.amdhsa_exception_int_div_zero 0
	.end_amdhsa_kernel
	.section	.text._Z12geglu_kernelIffLi160ELi1280ELi8ELi1EEvPT_PKS0_,"axG",@progbits,_Z12geglu_kernelIffLi160ELi1280ELi8ELi1EEvPT_PKS0_,comdat
.Lfunc_end0:
	.size	_Z12geglu_kernelIffLi160ELi1280ELi8ELi1EEvPT_PKS0_, .Lfunc_end0-_Z12geglu_kernelIffLi160ELi1280ELi8ELi1EEvPT_PKS0_
                                        ; -- End function
	.set _Z12geglu_kernelIffLi160ELi1280ELi8ELi1EEvPT_PKS0_.num_vgpr, 36
	.set _Z12geglu_kernelIffLi160ELi1280ELi8ELi1EEvPT_PKS0_.num_agpr, 0
	.set _Z12geglu_kernelIffLi160ELi1280ELi8ELi1EEvPT_PKS0_.numbered_sgpr, 9
	.set _Z12geglu_kernelIffLi160ELi1280ELi8ELi1EEvPT_PKS0_.num_named_barrier, 0
	.set _Z12geglu_kernelIffLi160ELi1280ELi8ELi1EEvPT_PKS0_.private_seg_size, 0
	.set _Z12geglu_kernelIffLi160ELi1280ELi8ELi1EEvPT_PKS0_.uses_vcc, 1
	.set _Z12geglu_kernelIffLi160ELi1280ELi8ELi1EEvPT_PKS0_.uses_flat_scratch, 0
	.set _Z12geglu_kernelIffLi160ELi1280ELi8ELi1EEvPT_PKS0_.has_dyn_sized_stack, 0
	.set _Z12geglu_kernelIffLi160ELi1280ELi8ELi1EEvPT_PKS0_.has_recursion, 0
	.set _Z12geglu_kernelIffLi160ELi1280ELi8ELi1EEvPT_PKS0_.has_indirect_call, 0
	.section	.AMDGPU.csdata,"",@progbits
; Kernel info:
; codeLenInByte = 3012
; TotalNumSgprs: 13
; NumVgprs: 36
; ScratchSize: 0
; MemoryBound: 0
; FloatMode: 240
; IeeeMode: 1
; LDSByteSize: 0 bytes/workgroup (compile time only)
; SGPRBlocks: 1
; VGPRBlocks: 8
; NumSGPRsForWavesPerEU: 13
; NumVGPRsForWavesPerEU: 36
; Occupancy: 7
; WaveLimiterHint : 0
; COMPUTE_PGM_RSRC2:SCRATCH_EN: 0
; COMPUTE_PGM_RSRC2:USER_SGPR: 6
; COMPUTE_PGM_RSRC2:TRAP_HANDLER: 0
; COMPUTE_PGM_RSRC2:TGID_X_EN: 1
; COMPUTE_PGM_RSRC2:TGID_Y_EN: 0
; COMPUTE_PGM_RSRC2:TGID_Z_EN: 0
; COMPUTE_PGM_RSRC2:TIDIG_COMP_CNT: 0
	.section	.text._Z12geglu_kernelIffLi160ELi2560ELi8ELi1EEvPT_PKS0_,"axG",@progbits,_Z12geglu_kernelIffLi160ELi2560ELi8ELi1EEvPT_PKS0_,comdat
	.protected	_Z12geglu_kernelIffLi160ELi2560ELi8ELi1EEvPT_PKS0_ ; -- Begin function _Z12geglu_kernelIffLi160ELi2560ELi8ELi1EEvPT_PKS0_
	.globl	_Z12geglu_kernelIffLi160ELi2560ELi8ELi1EEvPT_PKS0_
	.p2align	8
	.type	_Z12geglu_kernelIffLi160ELi2560ELi8ELi1EEvPT_PKS0_,@function
_Z12geglu_kernelIffLi160ELi2560ELi8ELi1EEvPT_PKS0_: ; @_Z12geglu_kernelIffLi160ELi2560ELi8ELi1EEvPT_PKS0_
; %bb.0:
	s_load_dwordx4 s[0:3], s[4:5], 0x0
	s_and_b32 s4, s6, -2
	s_bitcmp1_b32 s6, 0
	s_cselect_b32 s5, 0xa0, 0
	v_add_u32_e32 v19, s5, v0
	s_mul_hi_u32 s5, s4, 0x2800
	s_mulk_i32 s4, 0x2800
	s_waitcnt lgkmcnt(0)
	s_add_u32 s4, s2, s4
	s_addc_u32 s5, s3, s5
	s_or_b32 s7, s6, 1
	s_mul_hi_u32 s8, s7, 0x2800
	s_mulk_i32 s7, 0x2800
	s_add_u32 s2, s2, s7
	v_lshlrev_b32_e32 v16, 5, v19
	s_addc_u32 s3, s3, s8
	global_load_dwordx4 v[4:7], v16, s[2:3] offset:16
	global_load_dwordx4 v[12:15], v16, s[2:3]
	global_load_dwordx4 v[0:3], v16, s[4:5] offset:16
	global_load_dwordx4 v[8:11], v16, s[4:5]
                                        ; implicit-def: $vgpr17
	s_waitcnt vmcnt(2)
	v_mul_f32_e32 v16, 0x3f3504f3, v12
	v_cmp_nlt_f32_e64 s[2:3], |v16|, 1.0
	s_and_saveexec_b64 s[4:5], s[2:3]
	s_xor_b64 s[2:3], exec, s[4:5]
	s_cbranch_execz .LBB1_2
; %bb.1:
	s_mov_b32 s4, 0x378e98ab
	v_mov_b32_e32 v17, 0xb9c68948
	v_fma_f32 v17, |v16|, s4, v17
	s_mov_b32 s4, 0x3b7cd369
	v_fma_f32 v17, |v16|, v17, s4
	s_mov_b32 s4, 0xbcc618b2
	;; [unrolled: 2-line block ×5, first 2 shown]
	v_fma_f32 v17, |v16|, v17, s4
	v_fma_f32 v17, |v16|, v17, |v16|
	s_mov_b32 s4, 0xbfb8aa3b
	v_mul_f32_e32 v18, 0xbfb8aa3b, v17
	v_fma_f32 v20, v17, s4, -v18
	v_rndne_f32_e32 v21, v18
	v_fmac_f32_e32 v20, 0xb2a5705f, v17
	v_sub_f32_e32 v18, v18, v21
	v_add_f32_e32 v18, v18, v20
	v_exp_f32_e32 v18, v18
	v_cvt_i32_f32_e32 v20, v21
	s_mov_b32 s4, 0x42ce8ed0
	v_cmp_nlt_f32_e32 vcc, s4, v17
	s_mov_b32 s4, 0xc2b17218
	v_ldexp_f32 v18, v18, v20
	v_cndmask_b32_e32 v18, 0, v18, vcc
	v_mov_b32_e32 v20, 0x7f800000
	v_cmp_ngt_f32_e32 vcc, s4, v17
	v_cndmask_b32_e32 v17, v20, v18, vcc
	v_sub_f32_e32 v17, 1.0, v17
.LBB1_2:
	s_andn2_saveexec_b64 s[2:3], s[2:3]
	s_cbranch_execz .LBB1_4
; %bb.3:
	v_mul_f32_e32 v17, v16, v16
	v_mov_b32_e32 v18, 0x3ba10414
	v_fmac_f32_e32 v18, 0xba1345e1, v17
	v_mov_b32_e32 v20, 0xbcdac9b8
	v_fmac_f32_e32 v20, v17, v18
	v_mov_b32_e32 v18, 0x3de703be
	v_fmac_f32_e32 v18, v17, v20
	v_mov_b32_e32 v20, 0xbec09330
	v_fmac_f32_e32 v20, v17, v18
	v_mov_b32_e32 v18, 0x3e0375d0
	v_fmac_f32_e32 v18, v17, v20
	v_fma_f32 v17, |v16|, v18, |v16|
.LBB1_4:
	s_or_b64 exec, exec, s[2:3]
	v_mul_f32_e32 v18, 0x3f3504f3, v13
	v_cmp_nlt_f32_e64 s[2:3], |v18|, 1.0
                                        ; implicit-def: $vgpr20
	s_and_saveexec_b64 s[4:5], s[2:3]
	s_xor_b64 s[2:3], exec, s[4:5]
	s_cbranch_execz .LBB1_6
; %bb.5:
	s_mov_b32 s4, 0x378e98ab
	v_mov_b32_e32 v20, 0xb9c68948
	v_fma_f32 v20, |v18|, s4, v20
	s_mov_b32 s4, 0x3b7cd369
	v_fma_f32 v20, |v18|, v20, s4
	s_mov_b32 s4, 0xbcc618b2
	;; [unrolled: 2-line block ×5, first 2 shown]
	v_fma_f32 v20, |v18|, v20, s4
	v_fma_f32 v20, |v18|, v20, |v18|
	s_mov_b32 s4, 0xbfb8aa3b
	v_mul_f32_e32 v21, 0xbfb8aa3b, v20
	v_fma_f32 v22, v20, s4, -v21
	v_rndne_f32_e32 v23, v21
	v_fmac_f32_e32 v22, 0xb2a5705f, v20
	v_sub_f32_e32 v21, v21, v23
	v_add_f32_e32 v21, v21, v22
	v_exp_f32_e32 v21, v21
	v_cvt_i32_f32_e32 v22, v23
	s_mov_b32 s4, 0x42ce8ed0
	v_cmp_nlt_f32_e32 vcc, s4, v20
	s_mov_b32 s4, 0xc2b17218
	v_ldexp_f32 v21, v21, v22
	v_cndmask_b32_e32 v21, 0, v21, vcc
	v_mov_b32_e32 v22, 0x7f800000
	v_cmp_ngt_f32_e32 vcc, s4, v20
	v_cndmask_b32_e32 v20, v22, v21, vcc
	v_sub_f32_e32 v20, 1.0, v20
.LBB1_6:
	s_andn2_saveexec_b64 s[2:3], s[2:3]
	s_cbranch_execz .LBB1_8
; %bb.7:
	v_mul_f32_e32 v20, v18, v18
	v_mov_b32_e32 v21, 0x3ba10414
	v_fmac_f32_e32 v21, 0xba1345e1, v20
	v_mov_b32_e32 v22, 0xbcdac9b8
	v_fmac_f32_e32 v22, v20, v21
	;; [unrolled: 2-line block ×5, first 2 shown]
	v_fma_f32 v20, |v18|, v21, |v18|
.LBB1_8:
	s_or_b64 exec, exec, s[2:3]
	v_mul_f32_e32 v21, 0x3f3504f3, v14
	v_cmp_nlt_f32_e64 s[2:3], |v21|, 1.0
                                        ; implicit-def: $vgpr22
	s_and_saveexec_b64 s[4:5], s[2:3]
	s_xor_b64 s[2:3], exec, s[4:5]
	s_cbranch_execz .LBB1_10
; %bb.9:
	s_mov_b32 s4, 0x378e98ab
	v_mov_b32_e32 v22, 0xb9c68948
	v_fma_f32 v22, |v21|, s4, v22
	s_mov_b32 s4, 0x3b7cd369
	v_fma_f32 v22, |v21|, v22, s4
	s_mov_b32 s4, 0xbcc618b2
	;; [unrolled: 2-line block ×5, first 2 shown]
	v_fma_f32 v22, |v21|, v22, s4
	v_fma_f32 v22, |v21|, v22, |v21|
	s_mov_b32 s4, 0xbfb8aa3b
	v_mul_f32_e32 v23, 0xbfb8aa3b, v22
	v_fma_f32 v24, v22, s4, -v23
	v_rndne_f32_e32 v25, v23
	v_fmac_f32_e32 v24, 0xb2a5705f, v22
	v_sub_f32_e32 v23, v23, v25
	v_add_f32_e32 v23, v23, v24
	v_exp_f32_e32 v23, v23
	v_cvt_i32_f32_e32 v24, v25
	s_mov_b32 s4, 0x42ce8ed0
	v_cmp_nlt_f32_e32 vcc, s4, v22
	s_mov_b32 s4, 0xc2b17218
	v_ldexp_f32 v23, v23, v24
	v_cndmask_b32_e32 v23, 0, v23, vcc
	v_mov_b32_e32 v24, 0x7f800000
	v_cmp_ngt_f32_e32 vcc, s4, v22
	v_cndmask_b32_e32 v22, v24, v23, vcc
	v_sub_f32_e32 v22, 1.0, v22
.LBB1_10:
	s_andn2_saveexec_b64 s[2:3], s[2:3]
	s_cbranch_execz .LBB1_12
; %bb.11:
	v_mul_f32_e32 v22, v21, v21
	v_mov_b32_e32 v23, 0x3ba10414
	v_fmac_f32_e32 v23, 0xba1345e1, v22
	v_mov_b32_e32 v24, 0xbcdac9b8
	v_fmac_f32_e32 v24, v22, v23
	v_mov_b32_e32 v23, 0x3de703be
	v_fmac_f32_e32 v23, v22, v24
	v_mov_b32_e32 v24, 0xbec09330
	v_fmac_f32_e32 v24, v22, v23
	v_mov_b32_e32 v23, 0x3e0375d0
	v_fmac_f32_e32 v23, v22, v24
	v_fma_f32 v22, |v21|, v23, |v21|
.LBB1_12:
	s_or_b64 exec, exec, s[2:3]
	v_mul_f32_e32 v23, 0x3f3504f3, v15
	v_cmp_nlt_f32_e64 s[2:3], |v23|, 1.0
                                        ; implicit-def: $vgpr24
	s_and_saveexec_b64 s[4:5], s[2:3]
	s_xor_b64 s[2:3], exec, s[4:5]
	s_cbranch_execz .LBB1_14
; %bb.13:
	s_mov_b32 s4, 0x378e98ab
	v_mov_b32_e32 v24, 0xb9c68948
	v_fma_f32 v24, |v23|, s4, v24
	s_mov_b32 s4, 0x3b7cd369
	v_fma_f32 v24, |v23|, v24, s4
	s_mov_b32 s4, 0xbcc618b2
	;; [unrolled: 2-line block ×5, first 2 shown]
	v_fma_f32 v24, |v23|, v24, s4
	v_fma_f32 v24, |v23|, v24, |v23|
	s_mov_b32 s4, 0xbfb8aa3b
	v_mul_f32_e32 v25, 0xbfb8aa3b, v24
	v_fma_f32 v26, v24, s4, -v25
	v_rndne_f32_e32 v27, v25
	v_fmac_f32_e32 v26, 0xb2a5705f, v24
	v_sub_f32_e32 v25, v25, v27
	v_add_f32_e32 v25, v25, v26
	v_exp_f32_e32 v25, v25
	v_cvt_i32_f32_e32 v26, v27
	s_mov_b32 s4, 0x42ce8ed0
	v_cmp_nlt_f32_e32 vcc, s4, v24
	s_mov_b32 s4, 0xc2b17218
	v_ldexp_f32 v25, v25, v26
	v_cndmask_b32_e32 v25, 0, v25, vcc
	v_mov_b32_e32 v26, 0x7f800000
	v_cmp_ngt_f32_e32 vcc, s4, v24
	v_cndmask_b32_e32 v24, v26, v25, vcc
	v_sub_f32_e32 v24, 1.0, v24
.LBB1_14:
	s_andn2_saveexec_b64 s[2:3], s[2:3]
	s_cbranch_execz .LBB1_16
; %bb.15:
	v_mul_f32_e32 v24, v23, v23
	v_mov_b32_e32 v25, 0x3ba10414
	v_fmac_f32_e32 v25, 0xba1345e1, v24
	v_mov_b32_e32 v26, 0xbcdac9b8
	v_fmac_f32_e32 v26, v24, v25
	;; [unrolled: 2-line block ×5, first 2 shown]
	v_fma_f32 v24, |v23|, v25, |v23|
.LBB1_16:
	s_or_b64 exec, exec, s[2:3]
	v_mul_f32_e32 v25, 0x3f3504f3, v4
	v_cmp_nlt_f32_e64 s[2:3], |v25|, 1.0
                                        ; implicit-def: $vgpr26
	s_and_saveexec_b64 s[4:5], s[2:3]
	s_xor_b64 s[2:3], exec, s[4:5]
	s_cbranch_execz .LBB1_18
; %bb.17:
	s_mov_b32 s4, 0x378e98ab
	v_mov_b32_e32 v26, 0xb9c68948
	v_fma_f32 v26, |v25|, s4, v26
	s_mov_b32 s4, 0x3b7cd369
	v_fma_f32 v26, |v25|, v26, s4
	s_mov_b32 s4, 0xbcc618b2
	;; [unrolled: 2-line block ×5, first 2 shown]
	v_fma_f32 v26, |v25|, v26, s4
	v_fma_f32 v26, |v25|, v26, |v25|
	s_mov_b32 s4, 0xbfb8aa3b
	v_mul_f32_e32 v27, 0xbfb8aa3b, v26
	v_fma_f32 v28, v26, s4, -v27
	v_rndne_f32_e32 v29, v27
	v_fmac_f32_e32 v28, 0xb2a5705f, v26
	v_sub_f32_e32 v27, v27, v29
	v_add_f32_e32 v27, v27, v28
	v_exp_f32_e32 v27, v27
	v_cvt_i32_f32_e32 v28, v29
	s_mov_b32 s4, 0x42ce8ed0
	v_cmp_nlt_f32_e32 vcc, s4, v26
	s_mov_b32 s4, 0xc2b17218
	v_ldexp_f32 v27, v27, v28
	v_cndmask_b32_e32 v27, 0, v27, vcc
	v_mov_b32_e32 v28, 0x7f800000
	v_cmp_ngt_f32_e32 vcc, s4, v26
	v_cndmask_b32_e32 v26, v28, v27, vcc
	v_sub_f32_e32 v26, 1.0, v26
.LBB1_18:
	s_andn2_saveexec_b64 s[2:3], s[2:3]
	s_cbranch_execz .LBB1_20
; %bb.19:
	v_mul_f32_e32 v26, v25, v25
	v_mov_b32_e32 v27, 0x3ba10414
	v_fmac_f32_e32 v27, 0xba1345e1, v26
	v_mov_b32_e32 v28, 0xbcdac9b8
	v_fmac_f32_e32 v28, v26, v27
	;; [unrolled: 2-line block ×5, first 2 shown]
	v_fma_f32 v26, |v25|, v27, |v25|
.LBB1_20:
	s_or_b64 exec, exec, s[2:3]
	v_mul_f32_e32 v27, 0x3f3504f3, v5
	v_cmp_nlt_f32_e64 s[2:3], |v27|, 1.0
                                        ; implicit-def: $vgpr28
	s_and_saveexec_b64 s[4:5], s[2:3]
	s_xor_b64 s[2:3], exec, s[4:5]
	s_cbranch_execz .LBB1_22
; %bb.21:
	s_mov_b32 s4, 0x378e98ab
	v_mov_b32_e32 v28, 0xb9c68948
	v_fma_f32 v28, |v27|, s4, v28
	s_mov_b32 s4, 0x3b7cd369
	v_fma_f32 v28, |v27|, v28, s4
	s_mov_b32 s4, 0xbcc618b2
	;; [unrolled: 2-line block ×5, first 2 shown]
	v_fma_f32 v28, |v27|, v28, s4
	v_fma_f32 v28, |v27|, v28, |v27|
	s_mov_b32 s4, 0xbfb8aa3b
	v_mul_f32_e32 v29, 0xbfb8aa3b, v28
	v_fma_f32 v30, v28, s4, -v29
	v_rndne_f32_e32 v31, v29
	v_fmac_f32_e32 v30, 0xb2a5705f, v28
	v_sub_f32_e32 v29, v29, v31
	v_add_f32_e32 v29, v29, v30
	v_exp_f32_e32 v29, v29
	v_cvt_i32_f32_e32 v30, v31
	s_mov_b32 s4, 0x42ce8ed0
	v_cmp_nlt_f32_e32 vcc, s4, v28
	s_mov_b32 s4, 0xc2b17218
	v_ldexp_f32 v29, v29, v30
	v_cndmask_b32_e32 v29, 0, v29, vcc
	v_mov_b32_e32 v30, 0x7f800000
	v_cmp_ngt_f32_e32 vcc, s4, v28
	v_cndmask_b32_e32 v28, v30, v29, vcc
	v_sub_f32_e32 v28, 1.0, v28
.LBB1_22:
	s_andn2_saveexec_b64 s[2:3], s[2:3]
	s_cbranch_execz .LBB1_24
; %bb.23:
	v_mul_f32_e32 v28, v27, v27
	v_mov_b32_e32 v29, 0x3ba10414
	v_fmac_f32_e32 v29, 0xba1345e1, v28
	v_mov_b32_e32 v30, 0xbcdac9b8
	v_fmac_f32_e32 v30, v28, v29
	v_mov_b32_e32 v29, 0x3de703be
	v_fmac_f32_e32 v29, v28, v30
	v_mov_b32_e32 v30, 0xbec09330
	v_fmac_f32_e32 v30, v28, v29
	v_mov_b32_e32 v29, 0x3e0375d0
	v_fmac_f32_e32 v29, v28, v30
	v_fma_f32 v28, |v27|, v29, |v27|
.LBB1_24:
	s_or_b64 exec, exec, s[2:3]
	v_mul_f32_e32 v29, 0x3f3504f3, v6
	v_cmp_nlt_f32_e64 s[2:3], |v29|, 1.0
                                        ; implicit-def: $vgpr31
	s_and_saveexec_b64 s[4:5], s[2:3]
	s_xor_b64 s[2:3], exec, s[4:5]
	s_cbranch_execz .LBB1_26
; %bb.25:
	s_mov_b32 s4, 0x378e98ab
	v_mov_b32_e32 v30, 0xb9c68948
	v_fma_f32 v30, |v29|, s4, v30
	s_mov_b32 s4, 0x3b7cd369
	v_fma_f32 v30, |v29|, v30, s4
	s_mov_b32 s4, 0xbcc618b2
	;; [unrolled: 2-line block ×5, first 2 shown]
	v_fma_f32 v30, |v29|, v30, s4
	v_fma_f32 v30, |v29|, v30, |v29|
	s_mov_b32 s4, 0xbfb8aa3b
	v_mul_f32_e32 v31, 0xbfb8aa3b, v30
	v_fma_f32 v32, v30, s4, -v31
	v_rndne_f32_e32 v33, v31
	v_fmac_f32_e32 v32, 0xb2a5705f, v30
	v_sub_f32_e32 v31, v31, v33
	v_add_f32_e32 v31, v31, v32
	v_exp_f32_e32 v31, v31
	v_cvt_i32_f32_e32 v32, v33
	s_mov_b32 s4, 0x42ce8ed0
	v_cmp_nlt_f32_e32 vcc, s4, v30
	s_mov_b32 s4, 0xc2b17218
	v_ldexp_f32 v31, v31, v32
	v_cndmask_b32_e32 v31, 0, v31, vcc
	v_mov_b32_e32 v32, 0x7f800000
	v_cmp_ngt_f32_e32 vcc, s4, v30
	v_cndmask_b32_e32 v30, v32, v31, vcc
	v_sub_f32_e32 v31, 1.0, v30
.LBB1_26:
	s_andn2_saveexec_b64 s[2:3], s[2:3]
	s_cbranch_execz .LBB1_28
; %bb.27:
	v_mul_f32_e32 v30, v29, v29
	v_mov_b32_e32 v31, 0x3ba10414
	v_fmac_f32_e32 v31, 0xba1345e1, v30
	v_mov_b32_e32 v32, 0xbcdac9b8
	v_fmac_f32_e32 v32, v30, v31
	v_mov_b32_e32 v31, 0x3de703be
	v_fmac_f32_e32 v31, v30, v32
	v_mov_b32_e32 v32, 0xbec09330
	v_fmac_f32_e32 v32, v30, v31
	v_mov_b32_e32 v31, 0x3e0375d0
	v_fmac_f32_e32 v31, v30, v32
	v_fma_f32 v31, |v29|, v31, |v29|
.LBB1_28:
	s_or_b64 exec, exec, s[2:3]
	v_mul_f32_e32 v30, 0x3f3504f3, v7
	v_lshlrev_b32_e32 v19, 3, v19
	v_cmp_nlt_f32_e64 s[2:3], |v30|, 1.0
                                        ; implicit-def: $vgpr32
	s_and_saveexec_b64 s[4:5], s[2:3]
	s_xor_b64 s[2:3], exec, s[4:5]
	s_cbranch_execz .LBB1_30
; %bb.29:
	s_mov_b32 s4, 0x378e98ab
	v_mov_b32_e32 v32, 0xb9c68948
	v_fma_f32 v32, |v30|, s4, v32
	s_mov_b32 s4, 0x3b7cd369
	v_fma_f32 v32, |v30|, v32, s4
	s_mov_b32 s4, 0xbcc618b2
	;; [unrolled: 2-line block ×5, first 2 shown]
	v_fma_f32 v32, |v30|, v32, s4
	v_fma_f32 v32, |v30|, v32, |v30|
	s_mov_b32 s4, 0xbfb8aa3b
	v_mul_f32_e32 v33, 0xbfb8aa3b, v32
	v_fma_f32 v34, v32, s4, -v33
	v_rndne_f32_e32 v35, v33
	v_fmac_f32_e32 v34, 0xb2a5705f, v32
	v_sub_f32_e32 v33, v33, v35
	v_add_f32_e32 v33, v33, v34
	v_exp_f32_e32 v33, v33
	v_cvt_i32_f32_e32 v34, v35
	s_mov_b32 s4, 0x42ce8ed0
	v_cmp_nlt_f32_e32 vcc, s4, v32
	s_mov_b32 s4, 0xc2b17218
	v_ldexp_f32 v33, v33, v34
	v_cndmask_b32_e32 v33, 0, v33, vcc
	v_mov_b32_e32 v34, 0x7f800000
	v_cmp_ngt_f32_e32 vcc, s4, v32
	v_cndmask_b32_e32 v32, v34, v33, vcc
	v_sub_f32_e32 v32, 1.0, v32
.LBB1_30:
	s_andn2_saveexec_b64 s[2:3], s[2:3]
	s_cbranch_execz .LBB1_32
; %bb.31:
	v_mul_f32_e32 v32, v30, v30
	v_mov_b32_e32 v33, 0x3ba10414
	v_fmac_f32_e32 v33, 0xba1345e1, v32
	v_mov_b32_e32 v34, 0xbcdac9b8
	v_fmac_f32_e32 v34, v32, v33
	;; [unrolled: 2-line block ×5, first 2 shown]
	v_fma_f32 v32, |v30|, v33, |v30|
.LBB1_32:
	s_or_b64 exec, exec, s[2:3]
	s_brev_b32 s2, -2
	v_bfi_b32 v29, s2, v31, v29
	v_mul_f32_e32 v6, 0.5, v6
	v_add_f32_e32 v29, 1.0, v29
	v_mul_f32_e32 v6, v6, v29
	s_waitcnt vmcnt(1)
	v_mul_f32_e32 v2, v2, v6
	v_bfi_b32 v6, s2, v28, v27
	v_mul_f32_e32 v5, 0.5, v5
	v_add_f32_e32 v6, 1.0, v6
	v_mul_f32_e32 v5, v5, v6
	v_mul_f32_e32 v1, v1, v5
	v_bfi_b32 v5, s2, v26, v25
	v_mul_f32_e32 v4, 0.5, v4
	v_add_f32_e32 v5, 1.0, v5
	v_mul_f32_e32 v4, v4, v5
	v_bfi_b32 v5, s2, v24, v23
	v_mul_f32_e32 v0, v0, v4
	v_mul_f32_e32 v4, 0.5, v15
	v_add_f32_e32 v5, 1.0, v5
	v_mul_f32_e32 v4, v4, v5
	v_bfi_b32 v5, s2, v22, v21
	s_waitcnt vmcnt(0)
	v_mul_f32_e32 v11, v11, v4
	v_mul_f32_e32 v4, 0.5, v14
	v_add_f32_e32 v5, 1.0, v5
	v_mul_f32_e32 v4, v4, v5
	v_bfi_b32 v5, s2, v20, v18
	v_mul_f32_e32 v10, v10, v4
	v_mul_f32_e32 v4, 0.5, v13
	v_add_f32_e32 v5, 1.0, v5
	v_mul_f32_e32 v4, v4, v5
	v_bfi_b32 v5, s2, v17, v16
	;; [unrolled: 5-line block ×3, first 2 shown]
	s_lshr_b32 s2, s6, 1
	v_mul_f32_e32 v8, v8, v4
	v_mul_f32_e32 v4, 0.5, v7
	v_add_f32_e32 v5, 1.0, v5
	s_mul_hi_u32 s3, s2, 0x2800
	s_mulk_i32 s2, 0x2800
	v_mul_f32_e32 v4, v4, v5
	s_add_u32 s0, s0, s2
	v_mul_f32_e32 v3, v3, v4
	s_addc_u32 s1, s1, s3
	v_lshlrev_b32_e32 v4, 2, v19
	global_store_dwordx4 v4, v[8:11], s[0:1]
	global_store_dwordx4 v4, v[0:3], s[0:1] offset:16
	s_endpgm
	.section	.rodata,"a",@progbits
	.p2align	6, 0x0
	.amdhsa_kernel _Z12geglu_kernelIffLi160ELi2560ELi8ELi1EEvPT_PKS0_
		.amdhsa_group_segment_fixed_size 0
		.amdhsa_private_segment_fixed_size 0
		.amdhsa_kernarg_size 16
		.amdhsa_user_sgpr_count 6
		.amdhsa_user_sgpr_private_segment_buffer 1
		.amdhsa_user_sgpr_dispatch_ptr 0
		.amdhsa_user_sgpr_queue_ptr 0
		.amdhsa_user_sgpr_kernarg_segment_ptr 1
		.amdhsa_user_sgpr_dispatch_id 0
		.amdhsa_user_sgpr_flat_scratch_init 0
		.amdhsa_user_sgpr_private_segment_size 0
		.amdhsa_uses_dynamic_stack 0
		.amdhsa_system_sgpr_private_segment_wavefront_offset 0
		.amdhsa_system_sgpr_workgroup_id_x 1
		.amdhsa_system_sgpr_workgroup_id_y 0
		.amdhsa_system_sgpr_workgroup_id_z 0
		.amdhsa_system_sgpr_workgroup_info 0
		.amdhsa_system_vgpr_workitem_id 0
		.amdhsa_next_free_vgpr 36
		.amdhsa_next_free_sgpr 9
		.amdhsa_reserve_vcc 1
		.amdhsa_reserve_flat_scratch 0
		.amdhsa_float_round_mode_32 0
		.amdhsa_float_round_mode_16_64 0
		.amdhsa_float_denorm_mode_32 3
		.amdhsa_float_denorm_mode_16_64 3
		.amdhsa_dx10_clamp 1
		.amdhsa_ieee_mode 1
		.amdhsa_fp16_overflow 0
		.amdhsa_exception_fp_ieee_invalid_op 0
		.amdhsa_exception_fp_denorm_src 0
		.amdhsa_exception_fp_ieee_div_zero 0
		.amdhsa_exception_fp_ieee_overflow 0
		.amdhsa_exception_fp_ieee_underflow 0
		.amdhsa_exception_fp_ieee_inexact 0
		.amdhsa_exception_int_div_zero 0
	.end_amdhsa_kernel
	.section	.text._Z12geglu_kernelIffLi160ELi2560ELi8ELi1EEvPT_PKS0_,"axG",@progbits,_Z12geglu_kernelIffLi160ELi2560ELi8ELi1EEvPT_PKS0_,comdat
.Lfunc_end1:
	.size	_Z12geglu_kernelIffLi160ELi2560ELi8ELi1EEvPT_PKS0_, .Lfunc_end1-_Z12geglu_kernelIffLi160ELi2560ELi8ELi1EEvPT_PKS0_
                                        ; -- End function
	.set _Z12geglu_kernelIffLi160ELi2560ELi8ELi1EEvPT_PKS0_.num_vgpr, 36
	.set _Z12geglu_kernelIffLi160ELi2560ELi8ELi1EEvPT_PKS0_.num_agpr, 0
	.set _Z12geglu_kernelIffLi160ELi2560ELi8ELi1EEvPT_PKS0_.numbered_sgpr, 9
	.set _Z12geglu_kernelIffLi160ELi2560ELi8ELi1EEvPT_PKS0_.num_named_barrier, 0
	.set _Z12geglu_kernelIffLi160ELi2560ELi8ELi1EEvPT_PKS0_.private_seg_size, 0
	.set _Z12geglu_kernelIffLi160ELi2560ELi8ELi1EEvPT_PKS0_.uses_vcc, 1
	.set _Z12geglu_kernelIffLi160ELi2560ELi8ELi1EEvPT_PKS0_.uses_flat_scratch, 0
	.set _Z12geglu_kernelIffLi160ELi2560ELi8ELi1EEvPT_PKS0_.has_dyn_sized_stack, 0
	.set _Z12geglu_kernelIffLi160ELi2560ELi8ELi1EEvPT_PKS0_.has_recursion, 0
	.set _Z12geglu_kernelIffLi160ELi2560ELi8ELi1EEvPT_PKS0_.has_indirect_call, 0
	.section	.AMDGPU.csdata,"",@progbits
; Kernel info:
; codeLenInByte = 3028
; TotalNumSgprs: 13
; NumVgprs: 36
; ScratchSize: 0
; MemoryBound: 0
; FloatMode: 240
; IeeeMode: 1
; LDSByteSize: 0 bytes/workgroup (compile time only)
; SGPRBlocks: 1
; VGPRBlocks: 8
; NumSGPRsForWavesPerEU: 13
; NumVGPRsForWavesPerEU: 36
; Occupancy: 7
; WaveLimiterHint : 0
; COMPUTE_PGM_RSRC2:SCRATCH_EN: 0
; COMPUTE_PGM_RSRC2:USER_SGPR: 6
; COMPUTE_PGM_RSRC2:TRAP_HANDLER: 0
; COMPUTE_PGM_RSRC2:TGID_X_EN: 1
; COMPUTE_PGM_RSRC2:TGID_Y_EN: 0
; COMPUTE_PGM_RSRC2:TGID_Z_EN: 0
; COMPUTE_PGM_RSRC2:TIDIG_COMP_CNT: 0
	.section	.text._Z12geglu_kernelIffLi160ELi5120ELi8ELi1EEvPT_PKS0_,"axG",@progbits,_Z12geglu_kernelIffLi160ELi5120ELi8ELi1EEvPT_PKS0_,comdat
	.protected	_Z12geglu_kernelIffLi160ELi5120ELi8ELi1EEvPT_PKS0_ ; -- Begin function _Z12geglu_kernelIffLi160ELi5120ELi8ELi1EEvPT_PKS0_
	.globl	_Z12geglu_kernelIffLi160ELi5120ELi8ELi1EEvPT_PKS0_
	.p2align	8
	.type	_Z12geglu_kernelIffLi160ELi5120ELi8ELi1EEvPT_PKS0_,@function
_Z12geglu_kernelIffLi160ELi5120ELi8ELi1EEvPT_PKS0_: ; @_Z12geglu_kernelIffLi160ELi5120ELi8ELi1EEvPT_PKS0_
; %bb.0:
	s_load_dwordx4 s[0:3], s[4:5], 0x0
	s_and_b32 s4, s6, 3
	s_mulk_i32 s4, 0xa0
	s_lshr_b32 s7, s6, 1
	v_add_u32_e32 v19, s4, v0
	s_and_b32 s4, s7, 0x7ffffffe
	s_mul_hi_u32 s5, s4, 0x5000
	s_mulk_i32 s4, 0x5000
	s_waitcnt lgkmcnt(0)
	s_add_u32 s4, s2, s4
	s_addc_u32 s5, s3, s5
	s_or_b32 s7, s7, 1
	s_mul_hi_u32 s8, s7, 0x5000
	s_mulk_i32 s7, 0x5000
	s_add_u32 s2, s2, s7
	v_lshlrev_b32_e32 v16, 5, v19
	s_addc_u32 s3, s3, s8
	global_load_dwordx4 v[4:7], v16, s[2:3] offset:16
	global_load_dwordx4 v[12:15], v16, s[2:3]
	global_load_dwordx4 v[0:3], v16, s[4:5] offset:16
	global_load_dwordx4 v[8:11], v16, s[4:5]
                                        ; implicit-def: $vgpr17
	s_waitcnt vmcnt(2)
	v_mul_f32_e32 v16, 0x3f3504f3, v12
	v_cmp_nlt_f32_e64 s[2:3], |v16|, 1.0
	s_and_saveexec_b64 s[4:5], s[2:3]
	s_xor_b64 s[2:3], exec, s[4:5]
	s_cbranch_execz .LBB2_2
; %bb.1:
	s_mov_b32 s4, 0x378e98ab
	v_mov_b32_e32 v17, 0xb9c68948
	v_fma_f32 v17, |v16|, s4, v17
	s_mov_b32 s4, 0x3b7cd369
	v_fma_f32 v17, |v16|, v17, s4
	s_mov_b32 s4, 0xbcc618b2
	v_fma_f32 v17, |v16|, v17, s4
	s_mov_b32 s4, 0x3dda74e4
	v_fma_f32 v17, |v16|, v17, s4
	s_mov_b32 s4, 0x3f228afd
	v_fma_f32 v17, |v16|, v17, s4
	s_mov_b32 s4, 0x3e03c728
	v_fma_f32 v17, |v16|, v17, s4
	v_fma_f32 v17, |v16|, v17, |v16|
	s_mov_b32 s4, 0xbfb8aa3b
	v_mul_f32_e32 v18, 0xbfb8aa3b, v17
	v_fma_f32 v20, v17, s4, -v18
	v_rndne_f32_e32 v21, v18
	v_fmac_f32_e32 v20, 0xb2a5705f, v17
	v_sub_f32_e32 v18, v18, v21
	v_add_f32_e32 v18, v18, v20
	v_exp_f32_e32 v18, v18
	v_cvt_i32_f32_e32 v20, v21
	s_mov_b32 s4, 0x42ce8ed0
	v_cmp_nlt_f32_e32 vcc, s4, v17
	s_mov_b32 s4, 0xc2b17218
	v_ldexp_f32 v18, v18, v20
	v_cndmask_b32_e32 v18, 0, v18, vcc
	v_mov_b32_e32 v20, 0x7f800000
	v_cmp_ngt_f32_e32 vcc, s4, v17
	v_cndmask_b32_e32 v17, v20, v18, vcc
	v_sub_f32_e32 v17, 1.0, v17
.LBB2_2:
	s_andn2_saveexec_b64 s[2:3], s[2:3]
	s_cbranch_execz .LBB2_4
; %bb.3:
	v_mul_f32_e32 v17, v16, v16
	v_mov_b32_e32 v18, 0x3ba10414
	v_fmac_f32_e32 v18, 0xba1345e1, v17
	v_mov_b32_e32 v20, 0xbcdac9b8
	v_fmac_f32_e32 v20, v17, v18
	;; [unrolled: 2-line block ×5, first 2 shown]
	v_fma_f32 v17, |v16|, v18, |v16|
.LBB2_4:
	s_or_b64 exec, exec, s[2:3]
	v_mul_f32_e32 v18, 0x3f3504f3, v13
	v_cmp_nlt_f32_e64 s[2:3], |v18|, 1.0
                                        ; implicit-def: $vgpr20
	s_and_saveexec_b64 s[4:5], s[2:3]
	s_xor_b64 s[2:3], exec, s[4:5]
	s_cbranch_execz .LBB2_6
; %bb.5:
	s_mov_b32 s4, 0x378e98ab
	v_mov_b32_e32 v20, 0xb9c68948
	v_fma_f32 v20, |v18|, s4, v20
	s_mov_b32 s4, 0x3b7cd369
	v_fma_f32 v20, |v18|, v20, s4
	s_mov_b32 s4, 0xbcc618b2
	;; [unrolled: 2-line block ×5, first 2 shown]
	v_fma_f32 v20, |v18|, v20, s4
	v_fma_f32 v20, |v18|, v20, |v18|
	s_mov_b32 s4, 0xbfb8aa3b
	v_mul_f32_e32 v21, 0xbfb8aa3b, v20
	v_fma_f32 v22, v20, s4, -v21
	v_rndne_f32_e32 v23, v21
	v_fmac_f32_e32 v22, 0xb2a5705f, v20
	v_sub_f32_e32 v21, v21, v23
	v_add_f32_e32 v21, v21, v22
	v_exp_f32_e32 v21, v21
	v_cvt_i32_f32_e32 v22, v23
	s_mov_b32 s4, 0x42ce8ed0
	v_cmp_nlt_f32_e32 vcc, s4, v20
	s_mov_b32 s4, 0xc2b17218
	v_ldexp_f32 v21, v21, v22
	v_cndmask_b32_e32 v21, 0, v21, vcc
	v_mov_b32_e32 v22, 0x7f800000
	v_cmp_ngt_f32_e32 vcc, s4, v20
	v_cndmask_b32_e32 v20, v22, v21, vcc
	v_sub_f32_e32 v20, 1.0, v20
.LBB2_6:
	s_andn2_saveexec_b64 s[2:3], s[2:3]
	s_cbranch_execz .LBB2_8
; %bb.7:
	v_mul_f32_e32 v20, v18, v18
	v_mov_b32_e32 v21, 0x3ba10414
	v_fmac_f32_e32 v21, 0xba1345e1, v20
	v_mov_b32_e32 v22, 0xbcdac9b8
	v_fmac_f32_e32 v22, v20, v21
	;; [unrolled: 2-line block ×5, first 2 shown]
	v_fma_f32 v20, |v18|, v21, |v18|
.LBB2_8:
	s_or_b64 exec, exec, s[2:3]
	v_mul_f32_e32 v21, 0x3f3504f3, v14
	v_cmp_nlt_f32_e64 s[2:3], |v21|, 1.0
                                        ; implicit-def: $vgpr22
	s_and_saveexec_b64 s[4:5], s[2:3]
	s_xor_b64 s[2:3], exec, s[4:5]
	s_cbranch_execz .LBB2_10
; %bb.9:
	s_mov_b32 s4, 0x378e98ab
	v_mov_b32_e32 v22, 0xb9c68948
	v_fma_f32 v22, |v21|, s4, v22
	s_mov_b32 s4, 0x3b7cd369
	v_fma_f32 v22, |v21|, v22, s4
	s_mov_b32 s4, 0xbcc618b2
	;; [unrolled: 2-line block ×5, first 2 shown]
	v_fma_f32 v22, |v21|, v22, s4
	v_fma_f32 v22, |v21|, v22, |v21|
	s_mov_b32 s4, 0xbfb8aa3b
	v_mul_f32_e32 v23, 0xbfb8aa3b, v22
	v_fma_f32 v24, v22, s4, -v23
	v_rndne_f32_e32 v25, v23
	v_fmac_f32_e32 v24, 0xb2a5705f, v22
	v_sub_f32_e32 v23, v23, v25
	v_add_f32_e32 v23, v23, v24
	v_exp_f32_e32 v23, v23
	v_cvt_i32_f32_e32 v24, v25
	s_mov_b32 s4, 0x42ce8ed0
	v_cmp_nlt_f32_e32 vcc, s4, v22
	s_mov_b32 s4, 0xc2b17218
	v_ldexp_f32 v23, v23, v24
	v_cndmask_b32_e32 v23, 0, v23, vcc
	v_mov_b32_e32 v24, 0x7f800000
	v_cmp_ngt_f32_e32 vcc, s4, v22
	v_cndmask_b32_e32 v22, v24, v23, vcc
	v_sub_f32_e32 v22, 1.0, v22
.LBB2_10:
	s_andn2_saveexec_b64 s[2:3], s[2:3]
	s_cbranch_execz .LBB2_12
; %bb.11:
	v_mul_f32_e32 v22, v21, v21
	v_mov_b32_e32 v23, 0x3ba10414
	v_fmac_f32_e32 v23, 0xba1345e1, v22
	v_mov_b32_e32 v24, 0xbcdac9b8
	v_fmac_f32_e32 v24, v22, v23
	;; [unrolled: 2-line block ×5, first 2 shown]
	v_fma_f32 v22, |v21|, v23, |v21|
.LBB2_12:
	s_or_b64 exec, exec, s[2:3]
	v_mul_f32_e32 v23, 0x3f3504f3, v15
	v_cmp_nlt_f32_e64 s[2:3], |v23|, 1.0
                                        ; implicit-def: $vgpr24
	s_and_saveexec_b64 s[4:5], s[2:3]
	s_xor_b64 s[2:3], exec, s[4:5]
	s_cbranch_execz .LBB2_14
; %bb.13:
	s_mov_b32 s4, 0x378e98ab
	v_mov_b32_e32 v24, 0xb9c68948
	v_fma_f32 v24, |v23|, s4, v24
	s_mov_b32 s4, 0x3b7cd369
	v_fma_f32 v24, |v23|, v24, s4
	s_mov_b32 s4, 0xbcc618b2
	;; [unrolled: 2-line block ×5, first 2 shown]
	v_fma_f32 v24, |v23|, v24, s4
	v_fma_f32 v24, |v23|, v24, |v23|
	s_mov_b32 s4, 0xbfb8aa3b
	v_mul_f32_e32 v25, 0xbfb8aa3b, v24
	v_fma_f32 v26, v24, s4, -v25
	v_rndne_f32_e32 v27, v25
	v_fmac_f32_e32 v26, 0xb2a5705f, v24
	v_sub_f32_e32 v25, v25, v27
	v_add_f32_e32 v25, v25, v26
	v_exp_f32_e32 v25, v25
	v_cvt_i32_f32_e32 v26, v27
	s_mov_b32 s4, 0x42ce8ed0
	v_cmp_nlt_f32_e32 vcc, s4, v24
	s_mov_b32 s4, 0xc2b17218
	v_ldexp_f32 v25, v25, v26
	v_cndmask_b32_e32 v25, 0, v25, vcc
	v_mov_b32_e32 v26, 0x7f800000
	v_cmp_ngt_f32_e32 vcc, s4, v24
	v_cndmask_b32_e32 v24, v26, v25, vcc
	v_sub_f32_e32 v24, 1.0, v24
.LBB2_14:
	s_andn2_saveexec_b64 s[2:3], s[2:3]
	s_cbranch_execz .LBB2_16
; %bb.15:
	v_mul_f32_e32 v24, v23, v23
	v_mov_b32_e32 v25, 0x3ba10414
	v_fmac_f32_e32 v25, 0xba1345e1, v24
	v_mov_b32_e32 v26, 0xbcdac9b8
	v_fmac_f32_e32 v26, v24, v25
	;; [unrolled: 2-line block ×5, first 2 shown]
	v_fma_f32 v24, |v23|, v25, |v23|
.LBB2_16:
	s_or_b64 exec, exec, s[2:3]
	v_mul_f32_e32 v25, 0x3f3504f3, v4
	v_cmp_nlt_f32_e64 s[2:3], |v25|, 1.0
                                        ; implicit-def: $vgpr26
	s_and_saveexec_b64 s[4:5], s[2:3]
	s_xor_b64 s[2:3], exec, s[4:5]
	s_cbranch_execz .LBB2_18
; %bb.17:
	s_mov_b32 s4, 0x378e98ab
	v_mov_b32_e32 v26, 0xb9c68948
	v_fma_f32 v26, |v25|, s4, v26
	s_mov_b32 s4, 0x3b7cd369
	v_fma_f32 v26, |v25|, v26, s4
	s_mov_b32 s4, 0xbcc618b2
	;; [unrolled: 2-line block ×5, first 2 shown]
	v_fma_f32 v26, |v25|, v26, s4
	v_fma_f32 v26, |v25|, v26, |v25|
	s_mov_b32 s4, 0xbfb8aa3b
	v_mul_f32_e32 v27, 0xbfb8aa3b, v26
	v_fma_f32 v28, v26, s4, -v27
	v_rndne_f32_e32 v29, v27
	v_fmac_f32_e32 v28, 0xb2a5705f, v26
	v_sub_f32_e32 v27, v27, v29
	v_add_f32_e32 v27, v27, v28
	v_exp_f32_e32 v27, v27
	v_cvt_i32_f32_e32 v28, v29
	s_mov_b32 s4, 0x42ce8ed0
	v_cmp_nlt_f32_e32 vcc, s4, v26
	s_mov_b32 s4, 0xc2b17218
	v_ldexp_f32 v27, v27, v28
	v_cndmask_b32_e32 v27, 0, v27, vcc
	v_mov_b32_e32 v28, 0x7f800000
	v_cmp_ngt_f32_e32 vcc, s4, v26
	v_cndmask_b32_e32 v26, v28, v27, vcc
	v_sub_f32_e32 v26, 1.0, v26
.LBB2_18:
	s_andn2_saveexec_b64 s[2:3], s[2:3]
	s_cbranch_execz .LBB2_20
; %bb.19:
	v_mul_f32_e32 v26, v25, v25
	v_mov_b32_e32 v27, 0x3ba10414
	v_fmac_f32_e32 v27, 0xba1345e1, v26
	v_mov_b32_e32 v28, 0xbcdac9b8
	v_fmac_f32_e32 v28, v26, v27
	;; [unrolled: 2-line block ×5, first 2 shown]
	v_fma_f32 v26, |v25|, v27, |v25|
.LBB2_20:
	s_or_b64 exec, exec, s[2:3]
	v_mul_f32_e32 v27, 0x3f3504f3, v5
	v_cmp_nlt_f32_e64 s[2:3], |v27|, 1.0
                                        ; implicit-def: $vgpr28
	s_and_saveexec_b64 s[4:5], s[2:3]
	s_xor_b64 s[2:3], exec, s[4:5]
	s_cbranch_execz .LBB2_22
; %bb.21:
	s_mov_b32 s4, 0x378e98ab
	v_mov_b32_e32 v28, 0xb9c68948
	v_fma_f32 v28, |v27|, s4, v28
	s_mov_b32 s4, 0x3b7cd369
	v_fma_f32 v28, |v27|, v28, s4
	s_mov_b32 s4, 0xbcc618b2
	;; [unrolled: 2-line block ×5, first 2 shown]
	v_fma_f32 v28, |v27|, v28, s4
	v_fma_f32 v28, |v27|, v28, |v27|
	s_mov_b32 s4, 0xbfb8aa3b
	v_mul_f32_e32 v29, 0xbfb8aa3b, v28
	v_fma_f32 v30, v28, s4, -v29
	v_rndne_f32_e32 v31, v29
	v_fmac_f32_e32 v30, 0xb2a5705f, v28
	v_sub_f32_e32 v29, v29, v31
	v_add_f32_e32 v29, v29, v30
	v_exp_f32_e32 v29, v29
	v_cvt_i32_f32_e32 v30, v31
	s_mov_b32 s4, 0x42ce8ed0
	v_cmp_nlt_f32_e32 vcc, s4, v28
	s_mov_b32 s4, 0xc2b17218
	v_ldexp_f32 v29, v29, v30
	v_cndmask_b32_e32 v29, 0, v29, vcc
	v_mov_b32_e32 v30, 0x7f800000
	v_cmp_ngt_f32_e32 vcc, s4, v28
	v_cndmask_b32_e32 v28, v30, v29, vcc
	v_sub_f32_e32 v28, 1.0, v28
.LBB2_22:
	s_andn2_saveexec_b64 s[2:3], s[2:3]
	s_cbranch_execz .LBB2_24
; %bb.23:
	v_mul_f32_e32 v28, v27, v27
	v_mov_b32_e32 v29, 0x3ba10414
	v_fmac_f32_e32 v29, 0xba1345e1, v28
	v_mov_b32_e32 v30, 0xbcdac9b8
	v_fmac_f32_e32 v30, v28, v29
	;; [unrolled: 2-line block ×5, first 2 shown]
	v_fma_f32 v28, |v27|, v29, |v27|
.LBB2_24:
	s_or_b64 exec, exec, s[2:3]
	v_mul_f32_e32 v29, 0x3f3504f3, v6
	v_cmp_nlt_f32_e64 s[2:3], |v29|, 1.0
                                        ; implicit-def: $vgpr31
	s_and_saveexec_b64 s[4:5], s[2:3]
	s_xor_b64 s[2:3], exec, s[4:5]
	s_cbranch_execz .LBB2_26
; %bb.25:
	s_mov_b32 s4, 0x378e98ab
	v_mov_b32_e32 v30, 0xb9c68948
	v_fma_f32 v30, |v29|, s4, v30
	s_mov_b32 s4, 0x3b7cd369
	v_fma_f32 v30, |v29|, v30, s4
	s_mov_b32 s4, 0xbcc618b2
	;; [unrolled: 2-line block ×5, first 2 shown]
	v_fma_f32 v30, |v29|, v30, s4
	v_fma_f32 v30, |v29|, v30, |v29|
	s_mov_b32 s4, 0xbfb8aa3b
	v_mul_f32_e32 v31, 0xbfb8aa3b, v30
	v_fma_f32 v32, v30, s4, -v31
	v_rndne_f32_e32 v33, v31
	v_fmac_f32_e32 v32, 0xb2a5705f, v30
	v_sub_f32_e32 v31, v31, v33
	v_add_f32_e32 v31, v31, v32
	v_exp_f32_e32 v31, v31
	v_cvt_i32_f32_e32 v32, v33
	s_mov_b32 s4, 0x42ce8ed0
	v_cmp_nlt_f32_e32 vcc, s4, v30
	s_mov_b32 s4, 0xc2b17218
	v_ldexp_f32 v31, v31, v32
	v_cndmask_b32_e32 v31, 0, v31, vcc
	v_mov_b32_e32 v32, 0x7f800000
	v_cmp_ngt_f32_e32 vcc, s4, v30
	v_cndmask_b32_e32 v30, v32, v31, vcc
	v_sub_f32_e32 v31, 1.0, v30
.LBB2_26:
	s_andn2_saveexec_b64 s[2:3], s[2:3]
	s_cbranch_execz .LBB2_28
; %bb.27:
	v_mul_f32_e32 v30, v29, v29
	v_mov_b32_e32 v31, 0x3ba10414
	v_fmac_f32_e32 v31, 0xba1345e1, v30
	v_mov_b32_e32 v32, 0xbcdac9b8
	v_fmac_f32_e32 v32, v30, v31
	;; [unrolled: 2-line block ×5, first 2 shown]
	v_fma_f32 v31, |v29|, v31, |v29|
.LBB2_28:
	s_or_b64 exec, exec, s[2:3]
	v_mul_f32_e32 v30, 0x3f3504f3, v7
	v_lshlrev_b32_e32 v19, 3, v19
	v_cmp_nlt_f32_e64 s[2:3], |v30|, 1.0
                                        ; implicit-def: $vgpr32
	s_and_saveexec_b64 s[4:5], s[2:3]
	s_xor_b64 s[2:3], exec, s[4:5]
	s_cbranch_execz .LBB2_30
; %bb.29:
	s_mov_b32 s4, 0x378e98ab
	v_mov_b32_e32 v32, 0xb9c68948
	v_fma_f32 v32, |v30|, s4, v32
	s_mov_b32 s4, 0x3b7cd369
	v_fma_f32 v32, |v30|, v32, s4
	s_mov_b32 s4, 0xbcc618b2
	;; [unrolled: 2-line block ×5, first 2 shown]
	v_fma_f32 v32, |v30|, v32, s4
	v_fma_f32 v32, |v30|, v32, |v30|
	s_mov_b32 s4, 0xbfb8aa3b
	v_mul_f32_e32 v33, 0xbfb8aa3b, v32
	v_fma_f32 v34, v32, s4, -v33
	v_rndne_f32_e32 v35, v33
	v_fmac_f32_e32 v34, 0xb2a5705f, v32
	v_sub_f32_e32 v33, v33, v35
	v_add_f32_e32 v33, v33, v34
	v_exp_f32_e32 v33, v33
	v_cvt_i32_f32_e32 v34, v35
	s_mov_b32 s4, 0x42ce8ed0
	v_cmp_nlt_f32_e32 vcc, s4, v32
	s_mov_b32 s4, 0xc2b17218
	v_ldexp_f32 v33, v33, v34
	v_cndmask_b32_e32 v33, 0, v33, vcc
	v_mov_b32_e32 v34, 0x7f800000
	v_cmp_ngt_f32_e32 vcc, s4, v32
	v_cndmask_b32_e32 v32, v34, v33, vcc
	v_sub_f32_e32 v32, 1.0, v32
.LBB2_30:
	s_andn2_saveexec_b64 s[2:3], s[2:3]
	s_cbranch_execz .LBB2_32
; %bb.31:
	v_mul_f32_e32 v32, v30, v30
	v_mov_b32_e32 v33, 0x3ba10414
	v_fmac_f32_e32 v33, 0xba1345e1, v32
	v_mov_b32_e32 v34, 0xbcdac9b8
	v_fmac_f32_e32 v34, v32, v33
	;; [unrolled: 2-line block ×5, first 2 shown]
	v_fma_f32 v32, |v30|, v33, |v30|
.LBB2_32:
	s_or_b64 exec, exec, s[2:3]
	s_brev_b32 s2, -2
	v_bfi_b32 v29, s2, v31, v29
	v_mul_f32_e32 v6, 0.5, v6
	v_add_f32_e32 v29, 1.0, v29
	v_mul_f32_e32 v6, v6, v29
	s_waitcnt vmcnt(1)
	v_mul_f32_e32 v2, v2, v6
	v_bfi_b32 v6, s2, v28, v27
	v_mul_f32_e32 v5, 0.5, v5
	v_add_f32_e32 v6, 1.0, v6
	v_mul_f32_e32 v5, v5, v6
	v_mul_f32_e32 v1, v1, v5
	v_bfi_b32 v5, s2, v26, v25
	v_mul_f32_e32 v4, 0.5, v4
	v_add_f32_e32 v5, 1.0, v5
	v_mul_f32_e32 v4, v4, v5
	v_bfi_b32 v5, s2, v24, v23
	v_mul_f32_e32 v0, v0, v4
	v_mul_f32_e32 v4, 0.5, v15
	v_add_f32_e32 v5, 1.0, v5
	v_mul_f32_e32 v4, v4, v5
	v_bfi_b32 v5, s2, v22, v21
	s_waitcnt vmcnt(0)
	v_mul_f32_e32 v11, v11, v4
	v_mul_f32_e32 v4, 0.5, v14
	v_add_f32_e32 v5, 1.0, v5
	v_mul_f32_e32 v4, v4, v5
	v_bfi_b32 v5, s2, v20, v18
	v_mul_f32_e32 v10, v10, v4
	v_mul_f32_e32 v4, 0.5, v13
	v_add_f32_e32 v5, 1.0, v5
	v_mul_f32_e32 v4, v4, v5
	v_bfi_b32 v5, s2, v17, v16
	;; [unrolled: 5-line block ×3, first 2 shown]
	s_lshr_b32 s2, s6, 2
	v_mul_f32_e32 v8, v8, v4
	v_mul_f32_e32 v4, 0.5, v7
	v_add_f32_e32 v5, 1.0, v5
	s_mul_hi_u32 s3, s2, 0x5000
	s_mulk_i32 s2, 0x5000
	v_mul_f32_e32 v4, v4, v5
	s_add_u32 s0, s0, s2
	v_mul_f32_e32 v3, v3, v4
	s_addc_u32 s1, s1, s3
	v_lshlrev_b32_e32 v4, 2, v19
	global_store_dwordx4 v4, v[8:11], s[0:1]
	global_store_dwordx4 v4, v[0:3], s[0:1] offset:16
	s_endpgm
	.section	.rodata,"a",@progbits
	.p2align	6, 0x0
	.amdhsa_kernel _Z12geglu_kernelIffLi160ELi5120ELi8ELi1EEvPT_PKS0_
		.amdhsa_group_segment_fixed_size 0
		.amdhsa_private_segment_fixed_size 0
		.amdhsa_kernarg_size 16
		.amdhsa_user_sgpr_count 6
		.amdhsa_user_sgpr_private_segment_buffer 1
		.amdhsa_user_sgpr_dispatch_ptr 0
		.amdhsa_user_sgpr_queue_ptr 0
		.amdhsa_user_sgpr_kernarg_segment_ptr 1
		.amdhsa_user_sgpr_dispatch_id 0
		.amdhsa_user_sgpr_flat_scratch_init 0
		.amdhsa_user_sgpr_private_segment_size 0
		.amdhsa_uses_dynamic_stack 0
		.amdhsa_system_sgpr_private_segment_wavefront_offset 0
		.amdhsa_system_sgpr_workgroup_id_x 1
		.amdhsa_system_sgpr_workgroup_id_y 0
		.amdhsa_system_sgpr_workgroup_id_z 0
		.amdhsa_system_sgpr_workgroup_info 0
		.amdhsa_system_vgpr_workitem_id 0
		.amdhsa_next_free_vgpr 36
		.amdhsa_next_free_sgpr 9
		.amdhsa_reserve_vcc 1
		.amdhsa_reserve_flat_scratch 0
		.amdhsa_float_round_mode_32 0
		.amdhsa_float_round_mode_16_64 0
		.amdhsa_float_denorm_mode_32 3
		.amdhsa_float_denorm_mode_16_64 3
		.amdhsa_dx10_clamp 1
		.amdhsa_ieee_mode 1
		.amdhsa_fp16_overflow 0
		.amdhsa_exception_fp_ieee_invalid_op 0
		.amdhsa_exception_fp_denorm_src 0
		.amdhsa_exception_fp_ieee_div_zero 0
		.amdhsa_exception_fp_ieee_overflow 0
		.amdhsa_exception_fp_ieee_underflow 0
		.amdhsa_exception_fp_ieee_inexact 0
		.amdhsa_exception_int_div_zero 0
	.end_amdhsa_kernel
	.section	.text._Z12geglu_kernelIffLi160ELi5120ELi8ELi1EEvPT_PKS0_,"axG",@progbits,_Z12geglu_kernelIffLi160ELi5120ELi8ELi1EEvPT_PKS0_,comdat
.Lfunc_end2:
	.size	_Z12geglu_kernelIffLi160ELi5120ELi8ELi1EEvPT_PKS0_, .Lfunc_end2-_Z12geglu_kernelIffLi160ELi5120ELi8ELi1EEvPT_PKS0_
                                        ; -- End function
	.set _Z12geglu_kernelIffLi160ELi5120ELi8ELi1EEvPT_PKS0_.num_vgpr, 36
	.set _Z12geglu_kernelIffLi160ELi5120ELi8ELi1EEvPT_PKS0_.num_agpr, 0
	.set _Z12geglu_kernelIffLi160ELi5120ELi8ELi1EEvPT_PKS0_.numbered_sgpr, 9
	.set _Z12geglu_kernelIffLi160ELi5120ELi8ELi1EEvPT_PKS0_.num_named_barrier, 0
	.set _Z12geglu_kernelIffLi160ELi5120ELi8ELi1EEvPT_PKS0_.private_seg_size, 0
	.set _Z12geglu_kernelIffLi160ELi5120ELi8ELi1EEvPT_PKS0_.uses_vcc, 1
	.set _Z12geglu_kernelIffLi160ELi5120ELi8ELi1EEvPT_PKS0_.uses_flat_scratch, 0
	.set _Z12geglu_kernelIffLi160ELi5120ELi8ELi1EEvPT_PKS0_.has_dyn_sized_stack, 0
	.set _Z12geglu_kernelIffLi160ELi5120ELi8ELi1EEvPT_PKS0_.has_recursion, 0
	.set _Z12geglu_kernelIffLi160ELi5120ELi8ELi1EEvPT_PKS0_.has_indirect_call, 0
	.section	.AMDGPU.csdata,"",@progbits
; Kernel info:
; codeLenInByte = 3032
; TotalNumSgprs: 13
; NumVgprs: 36
; ScratchSize: 0
; MemoryBound: 0
; FloatMode: 240
; IeeeMode: 1
; LDSByteSize: 0 bytes/workgroup (compile time only)
; SGPRBlocks: 1
; VGPRBlocks: 8
; NumSGPRsForWavesPerEU: 13
; NumVGPRsForWavesPerEU: 36
; Occupancy: 7
; WaveLimiterHint : 0
; COMPUTE_PGM_RSRC2:SCRATCH_EN: 0
; COMPUTE_PGM_RSRC2:USER_SGPR: 6
; COMPUTE_PGM_RSRC2:TRAP_HANDLER: 0
; COMPUTE_PGM_RSRC2:TGID_X_EN: 1
; COMPUTE_PGM_RSRC2:TGID_Y_EN: 0
; COMPUTE_PGM_RSRC2:TGID_Z_EN: 0
; COMPUTE_PGM_RSRC2:TIDIG_COMP_CNT: 0
	.section	.text._Z12geglu_kernelIffLi160ELi1280ELi8ELi2EEvPT_PKS0_,"axG",@progbits,_Z12geglu_kernelIffLi160ELi1280ELi8ELi2EEvPT_PKS0_,comdat
	.protected	_Z12geglu_kernelIffLi160ELi1280ELi8ELi2EEvPT_PKS0_ ; -- Begin function _Z12geglu_kernelIffLi160ELi1280ELi8ELi2EEvPT_PKS0_
	.globl	_Z12geglu_kernelIffLi160ELi1280ELi8ELi2EEvPT_PKS0_
	.p2align	8
	.type	_Z12geglu_kernelIffLi160ELi1280ELi8ELi2EEvPT_PKS0_,@function
_Z12geglu_kernelIffLi160ELi1280ELi8ELi2EEvPT_PKS0_: ; @_Z12geglu_kernelIffLi160ELi1280ELi8ELi2EEvPT_PKS0_
; %bb.0:
	s_mov_b64 s[10:11], s[2:3]
	s_mov_b64 s[8:9], s[0:1]
	s_load_dwordx4 s[0:3], s[4:5], 0x0
	v_lshlrev_b32_e32 v1, 5, v0
	s_add_u32 s8, s8, s7
	s_addc_u32 s9, s9, 0
	s_lshl_b32 s4, s6, 2
	s_waitcnt lgkmcnt(0)
	v_mov_b32_e32 v2, s3
	v_add_co_u32_e32 v1, vcc, s2, v1
	v_addc_co_u32_e32 v2, vcc, 0, v2, vcc
	v_mov_b32_e32 v13, 0x1400
	v_mad_i64_i32 v[3:4], s[2:3], s4, v13, v[1:2]
	s_or_b32 s2, s4, 1
	v_mad_i64_i32 v[17:18], s[2:3], s2, v13, v[1:2]
	global_load_dwordx4 v[9:12], v[3:4], off offset:16
	global_load_dwordx4 v[5:8], v[3:4], off
	s_or_b32 s2, s4, 2
	v_mad_i64_i32 v[19:20], s[2:3], s2, v13, v[1:2]
	s_or_b32 s2, s4, 3
	v_mad_i64_i32 v[29:30], s[2:3], s2, v13, v[1:2]
	global_load_dwordx4 v[21:24], v[17:18], off offset:16
	global_load_dwordx4 v[13:16], v[17:18], off
	global_load_dwordx4 v[1:4], v[19:20], off offset:16
	global_load_dwordx4 v[25:28], v[19:20], off
                                        ; kill: killed $vgpr19_vgpr20
                                        ; kill: killed $vgpr17_vgpr18
	s_nop 0
	global_load_dwordx4 v[17:20], v[29:30], off offset:16
	s_nop 0
	global_load_dwordx4 v[29:32], v[29:30], off
                                        ; implicit-def: $vgpr34
                                        ; kill: killed $vgpr34
	s_waitcnt vmcnt(4)
	v_mul_f32_e32 v33, 0x3f3504f3, v13
	v_cmp_nlt_f32_e64 s[2:3], |v33|, 1.0
	s_and_saveexec_b64 s[4:5], s[2:3]
	s_xor_b64 s[2:3], exec, s[4:5]
	s_cbranch_execz .LBB3_2
; %bb.1:
	s_mov_b32 s4, 0x378e98ab
	v_mov_b32_e32 v34, 0xb9c68948
	v_fma_f32 v34, |v33|, s4, v34
	s_mov_b32 s4, 0x3b7cd369
	v_fma_f32 v34, |v33|, v34, s4
	s_mov_b32 s4, 0xbcc618b2
	;; [unrolled: 2-line block ×5, first 2 shown]
	v_fma_f32 v34, |v33|, v34, s4
	v_fma_f32 v34, |v33|, v34, |v33|
	s_mov_b32 s4, 0xbfb8aa3b
	v_mul_f32_e32 v35, 0xbfb8aa3b, v34
	v_fma_f32 v36, v34, s4, -v35
	v_rndne_f32_e32 v37, v35
	v_fmac_f32_e32 v36, 0xb2a5705f, v34
	v_sub_f32_e32 v35, v35, v37
	v_add_f32_e32 v35, v35, v36
	v_exp_f32_e32 v35, v35
	v_cvt_i32_f32_e32 v36, v37
	s_mov_b32 s4, 0x42ce8ed0
	v_cmp_nlt_f32_e32 vcc, s4, v34
	s_mov_b32 s4, 0xc2b17218
	v_ldexp_f32 v35, v35, v36
	v_cndmask_b32_e32 v35, 0, v35, vcc
	v_mov_b32_e32 v36, 0x7f800000
	v_cmp_ngt_f32_e32 vcc, s4, v34
	v_cndmask_b32_e32 v34, v36, v35, vcc
	v_sub_f32_e32 v34, 1.0, v34
	buffer_store_dword v34, off, s[8:11], 0 ; 4-byte Folded Spill
.LBB3_2:
	s_andn2_saveexec_b64 s[2:3], s[2:3]
	s_cbranch_execz .LBB3_4
; %bb.3:
	v_mul_f32_e32 v34, v33, v33
	v_mov_b32_e32 v35, 0x3ba10414
	v_fmac_f32_e32 v35, 0xba1345e1, v34
	v_mov_b32_e32 v36, 0xbcdac9b8
	v_fmac_f32_e32 v36, v34, v35
	;; [unrolled: 2-line block ×5, first 2 shown]
	v_fma_f32 v34, |v33|, v35, |v33|
	buffer_store_dword v34, off, s[8:11], 0 ; 4-byte Folded Spill
.LBB3_4:
	s_or_b64 exec, exec, s[2:3]
	v_mul_f32_e32 v35, 0x3f3504f3, v14
	v_cmp_nlt_f32_e64 s[2:3], |v35|, 1.0
                                        ; implicit-def: $vgpr34
                                        ; kill: killed $vgpr34
	s_and_saveexec_b64 s[4:5], s[2:3]
	s_xor_b64 s[2:3], exec, s[4:5]
	s_cbranch_execz .LBB3_6
; %bb.5:
	s_mov_b32 s4, 0x378e98ab
	v_mov_b32_e32 v34, 0xb9c68948
	v_fma_f32 v34, |v35|, s4, v34
	s_mov_b32 s4, 0x3b7cd369
	v_fma_f32 v34, |v35|, v34, s4
	s_mov_b32 s4, 0xbcc618b2
	v_fma_f32 v34, |v35|, v34, s4
	s_mov_b32 s4, 0x3dda74e4
	v_fma_f32 v34, |v35|, v34, s4
	s_mov_b32 s4, 0x3f228afd
	v_fma_f32 v34, |v35|, v34, s4
	s_mov_b32 s4, 0x3e03c728
	v_fma_f32 v34, |v35|, v34, s4
	v_fma_f32 v34, |v35|, v34, |v35|
	s_mov_b32 s4, 0xbfb8aa3b
	v_mul_f32_e32 v36, 0xbfb8aa3b, v34
	v_fma_f32 v37, v34, s4, -v36
	v_rndne_f32_e32 v38, v36
	v_fmac_f32_e32 v37, 0xb2a5705f, v34
	v_sub_f32_e32 v36, v36, v38
	v_add_f32_e32 v36, v36, v37
	v_exp_f32_e32 v36, v36
	v_cvt_i32_f32_e32 v37, v38
	s_mov_b32 s4, 0x42ce8ed0
	v_cmp_nlt_f32_e32 vcc, s4, v34
	s_mov_b32 s4, 0xc2b17218
	v_ldexp_f32 v36, v36, v37
	v_cndmask_b32_e32 v36, 0, v36, vcc
	v_mov_b32_e32 v37, 0x7f800000
	v_cmp_ngt_f32_e32 vcc, s4, v34
	v_cndmask_b32_e32 v34, v37, v36, vcc
	v_sub_f32_e32 v34, 1.0, v34
	buffer_store_dword v34, off, s[8:11], 0 offset:4 ; 4-byte Folded Spill
.LBB3_6:
	s_andn2_saveexec_b64 s[2:3], s[2:3]
	s_cbranch_execz .LBB3_8
; %bb.7:
	v_mul_f32_e32 v34, v35, v35
	v_mov_b32_e32 v36, 0x3ba10414
	v_fmac_f32_e32 v36, 0xba1345e1, v34
	v_mov_b32_e32 v37, 0xbcdac9b8
	v_fmac_f32_e32 v37, v34, v36
	v_mov_b32_e32 v36, 0x3de703be
	v_fmac_f32_e32 v36, v34, v37
	v_mov_b32_e32 v37, 0xbec09330
	v_fmac_f32_e32 v37, v34, v36
	v_mov_b32_e32 v36, 0x3e0375d0
	v_fmac_f32_e32 v36, v34, v37
	v_fma_f32 v34, |v35|, v36, |v35|
	buffer_store_dword v34, off, s[8:11], 0 offset:4 ; 4-byte Folded Spill
.LBB3_8:
	s_or_b64 exec, exec, s[2:3]
	v_mul_f32_e32 v37, 0x3f3504f3, v15
	v_cmp_nlt_f32_e64 s[2:3], |v37|, 1.0
                                        ; implicit-def: $vgpr34
                                        ; kill: killed $vgpr34
	s_and_saveexec_b64 s[4:5], s[2:3]
	s_xor_b64 s[2:3], exec, s[4:5]
	s_cbranch_execz .LBB3_10
; %bb.9:
	s_mov_b32 s4, 0x378e98ab
	v_mov_b32_e32 v34, 0xb9c68948
	v_fma_f32 v34, |v37|, s4, v34
	s_mov_b32 s4, 0x3b7cd369
	v_fma_f32 v34, |v37|, v34, s4
	s_mov_b32 s4, 0xbcc618b2
	v_fma_f32 v34, |v37|, v34, s4
	s_mov_b32 s4, 0x3dda74e4
	v_fma_f32 v34, |v37|, v34, s4
	s_mov_b32 s4, 0x3f228afd
	v_fma_f32 v34, |v37|, v34, s4
	s_mov_b32 s4, 0x3e03c728
	v_fma_f32 v34, |v37|, v34, s4
	v_fma_f32 v34, |v37|, v34, |v37|
	s_mov_b32 s4, 0xbfb8aa3b
	v_mul_f32_e32 v38, 0xbfb8aa3b, v34
	v_fma_f32 v39, v34, s4, -v38
	v_rndne_f32_e32 v40, v38
	v_fmac_f32_e32 v39, 0xb2a5705f, v34
	v_sub_f32_e32 v38, v38, v40
	v_add_f32_e32 v38, v38, v39
	v_exp_f32_e32 v38, v38
	v_cvt_i32_f32_e32 v39, v40
	s_mov_b32 s4, 0x42ce8ed0
	v_cmp_nlt_f32_e32 vcc, s4, v34
	s_mov_b32 s4, 0xc2b17218
	v_ldexp_f32 v38, v38, v39
	v_cndmask_b32_e32 v38, 0, v38, vcc
	v_mov_b32_e32 v39, 0x7f800000
	v_cmp_ngt_f32_e32 vcc, s4, v34
	v_cndmask_b32_e32 v34, v39, v38, vcc
	v_sub_f32_e32 v34, 1.0, v34
	buffer_store_dword v34, off, s[8:11], 0 offset:8 ; 4-byte Folded Spill
.LBB3_10:
	s_andn2_saveexec_b64 s[2:3], s[2:3]
	s_cbranch_execz .LBB3_12
; %bb.11:
	v_mul_f32_e32 v34, v37, v37
	v_mov_b32_e32 v38, 0x3ba10414
	v_fmac_f32_e32 v38, 0xba1345e1, v34
	v_mov_b32_e32 v39, 0xbcdac9b8
	v_fmac_f32_e32 v39, v34, v38
	v_mov_b32_e32 v38, 0x3de703be
	v_fmac_f32_e32 v38, v34, v39
	v_mov_b32_e32 v39, 0xbec09330
	v_fmac_f32_e32 v39, v34, v38
	v_mov_b32_e32 v38, 0x3e0375d0
	v_fmac_f32_e32 v38, v34, v39
	v_fma_f32 v34, |v37|, v38, |v37|
	buffer_store_dword v34, off, s[8:11], 0 offset:8 ; 4-byte Folded Spill
.LBB3_12:
	;; [unrolled: 60-line block ×3, first 2 shown]
	s_or_b64 exec, exec, s[2:3]
	v_mul_f32_e32 v41, 0x3f3504f3, v21
	v_cmp_nlt_f32_e64 s[2:3], |v41|, 1.0
                                        ; implicit-def: $vgpr42
	s_and_saveexec_b64 s[4:5], s[2:3]
	s_xor_b64 s[2:3], exec, s[4:5]
	s_cbranch_execz .LBB3_18
; %bb.17:
	s_mov_b32 s4, 0x378e98ab
	v_mov_b32_e32 v34, 0xb9c68948
	v_fma_f32 v34, |v41|, s4, v34
	s_mov_b32 s4, 0x3b7cd369
	v_fma_f32 v34, |v41|, v34, s4
	s_mov_b32 s4, 0xbcc618b2
	;; [unrolled: 2-line block ×5, first 2 shown]
	v_fma_f32 v34, |v41|, v34, s4
	v_fma_f32 v34, |v41|, v34, |v41|
	s_mov_b32 s4, 0xbfb8aa3b
	v_mul_f32_e32 v42, 0xbfb8aa3b, v34
	v_fma_f32 v43, v34, s4, -v42
	v_rndne_f32_e32 v44, v42
	v_fmac_f32_e32 v43, 0xb2a5705f, v34
	v_sub_f32_e32 v42, v42, v44
	v_add_f32_e32 v42, v42, v43
	v_exp_f32_e32 v42, v42
	v_cvt_i32_f32_e32 v43, v44
	s_mov_b32 s4, 0x42ce8ed0
	v_cmp_nlt_f32_e32 vcc, s4, v34
	s_mov_b32 s4, 0xc2b17218
	v_ldexp_f32 v42, v42, v43
	v_cndmask_b32_e32 v42, 0, v42, vcc
	v_mov_b32_e32 v43, 0x7f800000
	v_cmp_ngt_f32_e32 vcc, s4, v34
	v_cndmask_b32_e32 v34, v43, v42, vcc
	v_sub_f32_e32 v42, 1.0, v34
.LBB3_18:
	s_andn2_saveexec_b64 s[2:3], s[2:3]
	s_cbranch_execz .LBB3_20
; %bb.19:
	v_mul_f32_e32 v34, v41, v41
	v_mov_b32_e32 v42, 0x3ba10414
	v_fmac_f32_e32 v42, 0xba1345e1, v34
	v_mov_b32_e32 v43, 0xbcdac9b8
	v_fmac_f32_e32 v43, v34, v42
	;; [unrolled: 2-line block ×5, first 2 shown]
	v_fma_f32 v42, |v41|, v42, |v41|
.LBB3_20:
	s_or_b64 exec, exec, s[2:3]
	v_mul_f32_e32 v43, 0x3f3504f3, v22
	v_cmp_nlt_f32_e64 s[2:3], |v43|, 1.0
                                        ; implicit-def: $vgpr44
	s_and_saveexec_b64 s[4:5], s[2:3]
	s_xor_b64 s[2:3], exec, s[4:5]
	s_cbranch_execz .LBB3_22
; %bb.21:
	s_mov_b32 s4, 0x378e98ab
	v_mov_b32_e32 v34, 0xb9c68948
	v_fma_f32 v34, |v43|, s4, v34
	s_mov_b32 s4, 0x3b7cd369
	v_fma_f32 v34, |v43|, v34, s4
	s_mov_b32 s4, 0xbcc618b2
	;; [unrolled: 2-line block ×5, first 2 shown]
	v_fma_f32 v34, |v43|, v34, s4
	v_fma_f32 v34, |v43|, v34, |v43|
	s_mov_b32 s4, 0xbfb8aa3b
	v_mul_f32_e32 v44, 0xbfb8aa3b, v34
	v_fma_f32 v45, v34, s4, -v44
	v_rndne_f32_e32 v46, v44
	v_fmac_f32_e32 v45, 0xb2a5705f, v34
	v_sub_f32_e32 v44, v44, v46
	v_add_f32_e32 v44, v44, v45
	v_exp_f32_e32 v44, v44
	v_cvt_i32_f32_e32 v45, v46
	s_mov_b32 s4, 0x42ce8ed0
	v_cmp_nlt_f32_e32 vcc, s4, v34
	s_mov_b32 s4, 0xc2b17218
	v_ldexp_f32 v44, v44, v45
	v_cndmask_b32_e32 v44, 0, v44, vcc
	v_mov_b32_e32 v45, 0x7f800000
	v_cmp_ngt_f32_e32 vcc, s4, v34
	v_cndmask_b32_e32 v34, v45, v44, vcc
	v_sub_f32_e32 v44, 1.0, v34
.LBB3_22:
	s_andn2_saveexec_b64 s[2:3], s[2:3]
	s_cbranch_execz .LBB3_24
; %bb.23:
	v_mul_f32_e32 v34, v43, v43
	v_mov_b32_e32 v44, 0x3ba10414
	v_fmac_f32_e32 v44, 0xba1345e1, v34
	v_mov_b32_e32 v45, 0xbcdac9b8
	v_fmac_f32_e32 v45, v34, v44
	;; [unrolled: 2-line block ×5, first 2 shown]
	v_fma_f32 v44, |v43|, v44, |v43|
.LBB3_24:
	s_or_b64 exec, exec, s[2:3]
	v_mul_f32_e32 v45, 0x3f3504f3, v23
	v_cmp_nlt_f32_e64 s[2:3], |v45|, 1.0
                                        ; implicit-def: $vgpr46
	s_and_saveexec_b64 s[4:5], s[2:3]
	s_xor_b64 s[2:3], exec, s[4:5]
	s_cbranch_execz .LBB3_26
; %bb.25:
	s_mov_b32 s4, 0x378e98ab
	v_mov_b32_e32 v34, 0xb9c68948
	v_fma_f32 v34, |v45|, s4, v34
	s_mov_b32 s4, 0x3b7cd369
	v_fma_f32 v34, |v45|, v34, s4
	s_mov_b32 s4, 0xbcc618b2
	;; [unrolled: 2-line block ×5, first 2 shown]
	v_fma_f32 v34, |v45|, v34, s4
	v_fma_f32 v34, |v45|, v34, |v45|
	s_mov_b32 s4, 0xbfb8aa3b
	v_mul_f32_e32 v46, 0xbfb8aa3b, v34
	v_fma_f32 v47, v34, s4, -v46
	v_rndne_f32_e32 v48, v46
	v_fmac_f32_e32 v47, 0xb2a5705f, v34
	v_sub_f32_e32 v46, v46, v48
	v_add_f32_e32 v46, v46, v47
	v_exp_f32_e32 v46, v46
	v_cvt_i32_f32_e32 v47, v48
	s_mov_b32 s4, 0x42ce8ed0
	v_cmp_nlt_f32_e32 vcc, s4, v34
	s_mov_b32 s4, 0xc2b17218
	v_ldexp_f32 v46, v46, v47
	v_cndmask_b32_e32 v46, 0, v46, vcc
	v_mov_b32_e32 v47, 0x7f800000
	v_cmp_ngt_f32_e32 vcc, s4, v34
	v_cndmask_b32_e32 v34, v47, v46, vcc
	v_sub_f32_e32 v46, 1.0, v34
.LBB3_26:
	s_andn2_saveexec_b64 s[2:3], s[2:3]
	s_cbranch_execz .LBB3_28
; %bb.27:
	v_mul_f32_e32 v34, v45, v45
	v_mov_b32_e32 v46, 0x3ba10414
	v_fmac_f32_e32 v46, 0xba1345e1, v34
	v_mov_b32_e32 v47, 0xbcdac9b8
	v_fmac_f32_e32 v47, v34, v46
	;; [unrolled: 2-line block ×5, first 2 shown]
	v_fma_f32 v46, |v45|, v46, |v45|
.LBB3_28:
	s_or_b64 exec, exec, s[2:3]
	v_mul_f32_e32 v47, 0x3f3504f3, v24
	v_cmp_nlt_f32_e64 s[2:3], |v47|, 1.0
                                        ; implicit-def: $vgpr48
	s_and_saveexec_b64 s[4:5], s[2:3]
	s_xor_b64 s[2:3], exec, s[4:5]
	s_cbranch_execz .LBB3_30
; %bb.29:
	s_mov_b32 s4, 0x378e98ab
	v_mov_b32_e32 v34, 0xb9c68948
	v_fma_f32 v34, |v47|, s4, v34
	s_mov_b32 s4, 0x3b7cd369
	v_fma_f32 v34, |v47|, v34, s4
	s_mov_b32 s4, 0xbcc618b2
	;; [unrolled: 2-line block ×5, first 2 shown]
	v_fma_f32 v34, |v47|, v34, s4
	v_fma_f32 v34, |v47|, v34, |v47|
	s_mov_b32 s4, 0xbfb8aa3b
	v_mul_f32_e32 v48, 0xbfb8aa3b, v34
	v_fma_f32 v49, v34, s4, -v48
	v_rndne_f32_e32 v50, v48
	v_fmac_f32_e32 v49, 0xb2a5705f, v34
	v_sub_f32_e32 v48, v48, v50
	v_add_f32_e32 v48, v48, v49
	v_exp_f32_e32 v48, v48
	v_cvt_i32_f32_e32 v49, v50
	s_mov_b32 s4, 0x42ce8ed0
	v_cmp_nlt_f32_e32 vcc, s4, v34
	s_mov_b32 s4, 0xc2b17218
	v_ldexp_f32 v48, v48, v49
	v_cndmask_b32_e32 v48, 0, v48, vcc
	v_mov_b32_e32 v49, 0x7f800000
	v_cmp_ngt_f32_e32 vcc, s4, v34
	v_cndmask_b32_e32 v34, v49, v48, vcc
	v_sub_f32_e32 v48, 1.0, v34
.LBB3_30:
	s_andn2_saveexec_b64 s[2:3], s[2:3]
	s_cbranch_execz .LBB3_32
; %bb.31:
	v_mul_f32_e32 v34, v47, v47
	v_mov_b32_e32 v48, 0x3ba10414
	v_fmac_f32_e32 v48, 0xba1345e1, v34
	v_mov_b32_e32 v49, 0xbcdac9b8
	v_fmac_f32_e32 v49, v34, v48
	;; [unrolled: 2-line block ×5, first 2 shown]
	v_fma_f32 v48, |v47|, v48, |v47|
.LBB3_32:
	s_or_b64 exec, exec, s[2:3]
	s_waitcnt vmcnt(0)
	v_mul_f32_e32 v49, 0x3f3504f3, v29
	v_cmp_nlt_f32_e64 s[2:3], |v49|, 1.0
                                        ; implicit-def: $vgpr50
	s_and_saveexec_b64 s[4:5], s[2:3]
	s_xor_b64 s[2:3], exec, s[4:5]
	s_cbranch_execz .LBB3_34
; %bb.33:
	s_mov_b32 s4, 0x378e98ab
	v_mov_b32_e32 v34, 0xb9c68948
	v_fma_f32 v34, |v49|, s4, v34
	s_mov_b32 s4, 0x3b7cd369
	v_fma_f32 v34, |v49|, v34, s4
	s_mov_b32 s4, 0xbcc618b2
	;; [unrolled: 2-line block ×5, first 2 shown]
	v_fma_f32 v34, |v49|, v34, s4
	v_fma_f32 v34, |v49|, v34, |v49|
	s_mov_b32 s4, 0xbfb8aa3b
	v_mul_f32_e32 v50, 0xbfb8aa3b, v34
	v_fma_f32 v51, v34, s4, -v50
	v_rndne_f32_e32 v52, v50
	v_fmac_f32_e32 v51, 0xb2a5705f, v34
	v_sub_f32_e32 v50, v50, v52
	v_add_f32_e32 v50, v50, v51
	v_exp_f32_e32 v50, v50
	v_cvt_i32_f32_e32 v51, v52
	s_mov_b32 s4, 0x42ce8ed0
	v_cmp_nlt_f32_e32 vcc, s4, v34
	s_mov_b32 s4, 0xc2b17218
	v_ldexp_f32 v50, v50, v51
	v_cndmask_b32_e32 v50, 0, v50, vcc
	v_mov_b32_e32 v51, 0x7f800000
	v_cmp_ngt_f32_e32 vcc, s4, v34
	v_cndmask_b32_e32 v34, v51, v50, vcc
	v_sub_f32_e32 v50, 1.0, v34
.LBB3_34:
	s_andn2_saveexec_b64 s[2:3], s[2:3]
	s_cbranch_execz .LBB3_36
; %bb.35:
	v_mul_f32_e32 v34, v49, v49
	v_mov_b32_e32 v50, 0x3ba10414
	v_fmac_f32_e32 v50, 0xba1345e1, v34
	v_mov_b32_e32 v51, 0xbcdac9b8
	v_fmac_f32_e32 v51, v34, v50
	v_mov_b32_e32 v50, 0x3de703be
	v_fmac_f32_e32 v50, v34, v51
	v_mov_b32_e32 v51, 0xbec09330
	v_fmac_f32_e32 v51, v34, v50
	v_mov_b32_e32 v50, 0x3e0375d0
	v_fmac_f32_e32 v50, v34, v51
	v_fma_f32 v50, |v49|, v50, |v49|
.LBB3_36:
	s_or_b64 exec, exec, s[2:3]
	v_mul_f32_e32 v51, 0x3f3504f3, v30
	v_cmp_nlt_f32_e64 s[2:3], |v51|, 1.0
                                        ; implicit-def: $vgpr52
	s_and_saveexec_b64 s[4:5], s[2:3]
	s_xor_b64 s[2:3], exec, s[4:5]
	s_cbranch_execz .LBB3_38
; %bb.37:
	s_mov_b32 s4, 0x378e98ab
	v_mov_b32_e32 v34, 0xb9c68948
	v_fma_f32 v34, |v51|, s4, v34
	s_mov_b32 s4, 0x3b7cd369
	v_fma_f32 v34, |v51|, v34, s4
	s_mov_b32 s4, 0xbcc618b2
	;; [unrolled: 2-line block ×5, first 2 shown]
	v_fma_f32 v34, |v51|, v34, s4
	v_fma_f32 v34, |v51|, v34, |v51|
	s_mov_b32 s4, 0xbfb8aa3b
	v_mul_f32_e32 v52, 0xbfb8aa3b, v34
	v_fma_f32 v53, v34, s4, -v52
	v_rndne_f32_e32 v54, v52
	v_fmac_f32_e32 v53, 0xb2a5705f, v34
	v_sub_f32_e32 v52, v52, v54
	v_add_f32_e32 v52, v52, v53
	v_exp_f32_e32 v52, v52
	v_cvt_i32_f32_e32 v53, v54
	s_mov_b32 s4, 0x42ce8ed0
	v_cmp_nlt_f32_e32 vcc, s4, v34
	s_mov_b32 s4, 0xc2b17218
	v_ldexp_f32 v52, v52, v53
	v_cndmask_b32_e32 v52, 0, v52, vcc
	v_mov_b32_e32 v53, 0x7f800000
	v_cmp_ngt_f32_e32 vcc, s4, v34
	v_cndmask_b32_e32 v34, v53, v52, vcc
	v_sub_f32_e32 v52, 1.0, v34
.LBB3_38:
	s_andn2_saveexec_b64 s[2:3], s[2:3]
	s_cbranch_execz .LBB3_40
; %bb.39:
	v_mul_f32_e32 v34, v51, v51
	v_mov_b32_e32 v52, 0x3ba10414
	v_fmac_f32_e32 v52, 0xba1345e1, v34
	v_mov_b32_e32 v53, 0xbcdac9b8
	v_fmac_f32_e32 v53, v34, v52
	;; [unrolled: 2-line block ×5, first 2 shown]
	v_fma_f32 v52, |v51|, v52, |v51|
.LBB3_40:
	s_or_b64 exec, exec, s[2:3]
	v_mul_f32_e32 v53, 0x3f3504f3, v31
	v_cmp_nlt_f32_e64 s[2:3], |v53|, 1.0
                                        ; implicit-def: $vgpr54
	s_and_saveexec_b64 s[4:5], s[2:3]
	s_xor_b64 s[2:3], exec, s[4:5]
	s_cbranch_execz .LBB3_42
; %bb.41:
	s_mov_b32 s4, 0x378e98ab
	v_mov_b32_e32 v34, 0xb9c68948
	v_fma_f32 v34, |v53|, s4, v34
	s_mov_b32 s4, 0x3b7cd369
	v_fma_f32 v34, |v53|, v34, s4
	s_mov_b32 s4, 0xbcc618b2
	;; [unrolled: 2-line block ×5, first 2 shown]
	v_fma_f32 v34, |v53|, v34, s4
	v_fma_f32 v34, |v53|, v34, |v53|
	s_mov_b32 s4, 0xbfb8aa3b
	v_mul_f32_e32 v54, 0xbfb8aa3b, v34
	v_fma_f32 v55, v34, s4, -v54
	v_rndne_f32_e32 v56, v54
	v_fmac_f32_e32 v55, 0xb2a5705f, v34
	v_sub_f32_e32 v54, v54, v56
	v_add_f32_e32 v54, v54, v55
	v_exp_f32_e32 v54, v54
	v_cvt_i32_f32_e32 v55, v56
	s_mov_b32 s4, 0x42ce8ed0
	v_cmp_nlt_f32_e32 vcc, s4, v34
	s_mov_b32 s4, 0xc2b17218
	v_ldexp_f32 v54, v54, v55
	v_cndmask_b32_e32 v54, 0, v54, vcc
	v_mov_b32_e32 v55, 0x7f800000
	v_cmp_ngt_f32_e32 vcc, s4, v34
	v_cndmask_b32_e32 v34, v55, v54, vcc
	v_sub_f32_e32 v54, 1.0, v34
.LBB3_42:
	s_andn2_saveexec_b64 s[2:3], s[2:3]
	s_cbranch_execz .LBB3_44
; %bb.43:
	v_mul_f32_e32 v34, v53, v53
	v_mov_b32_e32 v54, 0x3ba10414
	v_fmac_f32_e32 v54, 0xba1345e1, v34
	v_mov_b32_e32 v55, 0xbcdac9b8
	v_fmac_f32_e32 v55, v34, v54
	;; [unrolled: 2-line block ×5, first 2 shown]
	v_fma_f32 v54, |v53|, v54, |v53|
.LBB3_44:
	s_or_b64 exec, exec, s[2:3]
	v_mul_f32_e32 v55, 0x3f3504f3, v32
	v_cmp_nlt_f32_e64 s[2:3], |v55|, 1.0
                                        ; implicit-def: $vgpr56
	s_and_saveexec_b64 s[4:5], s[2:3]
	s_xor_b64 s[2:3], exec, s[4:5]
	s_cbranch_execz .LBB3_46
; %bb.45:
	s_mov_b32 s4, 0x378e98ab
	v_mov_b32_e32 v34, 0xb9c68948
	v_fma_f32 v34, |v55|, s4, v34
	s_mov_b32 s4, 0x3b7cd369
	v_fma_f32 v34, |v55|, v34, s4
	s_mov_b32 s4, 0xbcc618b2
	;; [unrolled: 2-line block ×5, first 2 shown]
	v_fma_f32 v34, |v55|, v34, s4
	v_fma_f32 v34, |v55|, v34, |v55|
	s_mov_b32 s4, 0xbfb8aa3b
	v_mul_f32_e32 v56, 0xbfb8aa3b, v34
	v_fma_f32 v57, v34, s4, -v56
	v_rndne_f32_e32 v58, v56
	v_fmac_f32_e32 v57, 0xb2a5705f, v34
	v_sub_f32_e32 v56, v56, v58
	v_add_f32_e32 v56, v56, v57
	v_exp_f32_e32 v56, v56
	v_cvt_i32_f32_e32 v57, v58
	s_mov_b32 s4, 0x42ce8ed0
	v_cmp_nlt_f32_e32 vcc, s4, v34
	s_mov_b32 s4, 0xc2b17218
	v_ldexp_f32 v56, v56, v57
	v_cndmask_b32_e32 v56, 0, v56, vcc
	v_mov_b32_e32 v57, 0x7f800000
	v_cmp_ngt_f32_e32 vcc, s4, v34
	v_cndmask_b32_e32 v34, v57, v56, vcc
	v_sub_f32_e32 v56, 1.0, v34
.LBB3_46:
	s_andn2_saveexec_b64 s[2:3], s[2:3]
	s_cbranch_execz .LBB3_48
; %bb.47:
	v_mul_f32_e32 v34, v55, v55
	v_mov_b32_e32 v56, 0x3ba10414
	v_fmac_f32_e32 v56, 0xba1345e1, v34
	v_mov_b32_e32 v57, 0xbcdac9b8
	v_fmac_f32_e32 v57, v34, v56
	;; [unrolled: 2-line block ×5, first 2 shown]
	v_fma_f32 v56, |v55|, v56, |v55|
.LBB3_48:
	s_or_b64 exec, exec, s[2:3]
	v_mul_f32_e32 v57, 0x3f3504f3, v17
	v_cmp_nlt_f32_e64 s[2:3], |v57|, 1.0
                                        ; implicit-def: $vgpr58
	s_and_saveexec_b64 s[4:5], s[2:3]
	s_xor_b64 s[2:3], exec, s[4:5]
	s_cbranch_execz .LBB3_50
; %bb.49:
	s_mov_b32 s4, 0x378e98ab
	v_mov_b32_e32 v34, 0xb9c68948
	v_fma_f32 v34, |v57|, s4, v34
	s_mov_b32 s4, 0x3b7cd369
	v_fma_f32 v34, |v57|, v34, s4
	s_mov_b32 s4, 0xbcc618b2
	;; [unrolled: 2-line block ×5, first 2 shown]
	v_fma_f32 v34, |v57|, v34, s4
	v_fma_f32 v34, |v57|, v34, |v57|
	s_mov_b32 s4, 0xbfb8aa3b
	v_mul_f32_e32 v58, 0xbfb8aa3b, v34
	v_fma_f32 v59, v34, s4, -v58
	v_rndne_f32_e32 v60, v58
	v_fmac_f32_e32 v59, 0xb2a5705f, v34
	v_sub_f32_e32 v58, v58, v60
	v_add_f32_e32 v58, v58, v59
	v_exp_f32_e32 v58, v58
	v_cvt_i32_f32_e32 v59, v60
	s_mov_b32 s4, 0x42ce8ed0
	v_cmp_nlt_f32_e32 vcc, s4, v34
	s_mov_b32 s4, 0xc2b17218
	v_ldexp_f32 v58, v58, v59
	v_cndmask_b32_e32 v58, 0, v58, vcc
	v_mov_b32_e32 v59, 0x7f800000
	v_cmp_ngt_f32_e32 vcc, s4, v34
	v_cndmask_b32_e32 v34, v59, v58, vcc
	v_sub_f32_e32 v58, 1.0, v34
.LBB3_50:
	s_andn2_saveexec_b64 s[2:3], s[2:3]
	s_cbranch_execz .LBB3_52
; %bb.51:
	v_mul_f32_e32 v34, v57, v57
	v_mov_b32_e32 v58, 0x3ba10414
	v_fmac_f32_e32 v58, 0xba1345e1, v34
	v_mov_b32_e32 v59, 0xbcdac9b8
	v_fmac_f32_e32 v59, v34, v58
	;; [unrolled: 2-line block ×5, first 2 shown]
	v_fma_f32 v58, |v57|, v58, |v57|
.LBB3_52:
	s_or_b64 exec, exec, s[2:3]
	v_mul_f32_e32 v59, 0x3f3504f3, v18
	v_cmp_nlt_f32_e64 s[2:3], |v59|, 1.0
                                        ; implicit-def: $vgpr61
	s_and_saveexec_b64 s[4:5], s[2:3]
	s_xor_b64 s[2:3], exec, s[4:5]
	s_cbranch_execz .LBB3_54
; %bb.53:
	s_mov_b32 s4, 0x378e98ab
	v_mov_b32_e32 v34, 0xb9c68948
	v_fma_f32 v34, |v59|, s4, v34
	s_mov_b32 s4, 0x3b7cd369
	v_fma_f32 v34, |v59|, v34, s4
	s_mov_b32 s4, 0xbcc618b2
	;; [unrolled: 2-line block ×5, first 2 shown]
	v_fma_f32 v34, |v59|, v34, s4
	v_fma_f32 v34, |v59|, v34, |v59|
	s_mov_b32 s4, 0xbfb8aa3b
	v_mul_f32_e32 v60, 0xbfb8aa3b, v34
	v_fma_f32 v61, v34, s4, -v60
	v_rndne_f32_e32 v62, v60
	v_fmac_f32_e32 v61, 0xb2a5705f, v34
	v_sub_f32_e32 v60, v60, v62
	v_add_f32_e32 v60, v60, v61
	v_exp_f32_e32 v60, v60
	v_cvt_i32_f32_e32 v61, v62
	s_mov_b32 s4, 0x42ce8ed0
	v_cmp_nlt_f32_e32 vcc, s4, v34
	s_mov_b32 s4, 0xc2b17218
	v_ldexp_f32 v60, v60, v61
	v_cndmask_b32_e32 v60, 0, v60, vcc
	v_mov_b32_e32 v61, 0x7f800000
	v_cmp_ngt_f32_e32 vcc, s4, v34
	v_cndmask_b32_e32 v34, v61, v60, vcc
	v_sub_f32_e32 v61, 1.0, v34
.LBB3_54:
	s_andn2_saveexec_b64 s[2:3], s[2:3]
	s_cbranch_execz .LBB3_56
; %bb.55:
	v_mul_f32_e32 v34, v59, v59
	v_mov_b32_e32 v60, 0x3ba10414
	v_fmac_f32_e32 v60, 0xba1345e1, v34
	v_mov_b32_e32 v61, 0xbcdac9b8
	v_fmac_f32_e32 v61, v34, v60
	;; [unrolled: 2-line block ×5, first 2 shown]
	v_fma_f32 v61, |v59|, v60, |v59|
.LBB3_56:
	s_or_b64 exec, exec, s[2:3]
	v_mul_f32_e32 v62, 0x3f3504f3, v19
	v_cmp_nlt_f32_e64 s[2:3], |v62|, 1.0
                                        ; implicit-def: $vgpr34
	s_and_saveexec_b64 s[4:5], s[2:3]
	s_xor_b64 s[2:3], exec, s[4:5]
	s_cbranch_execz .LBB3_58
; %bb.57:
	s_mov_b32 s4, 0x378e98ab
	v_mov_b32_e32 v34, 0xb9c68948
	v_fma_f32 v34, |v62|, s4, v34
	s_mov_b32 s4, 0x3b7cd369
	v_fma_f32 v34, |v62|, v34, s4
	s_mov_b32 s4, 0xbcc618b2
	;; [unrolled: 2-line block ×5, first 2 shown]
	v_fma_f32 v34, |v62|, v34, s4
	v_fma_f32 v34, |v62|, v34, |v62|
	s_mov_b32 s4, 0xbfb8aa3b
	v_mul_f32_e32 v60, 0xbfb8aa3b, v34
	v_fma_f32 v63, v34, s4, -v60
	v_rndne_f32_e32 v36, v60
	v_fmac_f32_e32 v63, 0xb2a5705f, v34
	v_sub_f32_e32 v60, v60, v36
	v_add_f32_e32 v60, v60, v63
	v_exp_f32_e32 v60, v60
	v_cvt_i32_f32_e32 v36, v36
	s_mov_b32 s4, 0x42ce8ed0
	v_cmp_nlt_f32_e32 vcc, s4, v34
	s_mov_b32 s4, 0xc2b17218
	v_ldexp_f32 v36, v60, v36
	v_cndmask_b32_e32 v36, 0, v36, vcc
	v_mov_b32_e32 v60, 0x7f800000
	v_cmp_ngt_f32_e32 vcc, s4, v34
	v_cndmask_b32_e32 v34, v60, v36, vcc
	v_sub_f32_e32 v34, 1.0, v34
.LBB3_58:
	s_andn2_saveexec_b64 s[2:3], s[2:3]
	s_cbranch_execz .LBB3_60
; %bb.59:
	v_mul_f32_e32 v34, v62, v62
	v_mov_b32_e32 v36, 0x3ba10414
	v_fmac_f32_e32 v36, 0xba1345e1, v34
	v_mov_b32_e32 v60, 0xbcdac9b8
	v_fmac_f32_e32 v60, v34, v36
	;; [unrolled: 2-line block ×5, first 2 shown]
	v_fma_f32 v34, |v62|, v36, |v62|
.LBB3_60:
	s_or_b64 exec, exec, s[2:3]
	v_mul_f32_e32 v60, 0x3f3504f3, v20
	v_lshlrev_b32_e32 v0, 3, v0
	v_cmp_nlt_f32_e64 s[2:3], |v60|, 1.0
                                        ; implicit-def: $vgpr63
	s_and_saveexec_b64 s[4:5], s[2:3]
	s_xor_b64 s[2:3], exec, s[4:5]
	s_cbranch_execz .LBB3_62
; %bb.61:
	s_mov_b32 s4, 0x378e98ab
	v_mov_b32_e32 v36, 0xb9c68948
	v_fma_f32 v36, |v60|, s4, v36
	s_mov_b32 s4, 0x3b7cd369
	v_fma_f32 v36, |v60|, v36, s4
	s_mov_b32 s4, 0xbcc618b2
	;; [unrolled: 2-line block ×5, first 2 shown]
	v_fma_f32 v36, |v60|, v36, s4
	v_fma_f32 v36, |v60|, v36, |v60|
	s_mov_b32 s4, 0xbfb8aa3b
	v_mul_f32_e32 v63, 0xbfb8aa3b, v36
	v_fma_f32 v38, v36, s4, -v63
	v_rndne_f32_e32 v40, v63
	v_fmac_f32_e32 v38, 0xb2a5705f, v36
	v_sub_f32_e32 v63, v63, v40
	v_add_f32_e32 v38, v63, v38
	v_exp_f32_e32 v38, v38
	v_cvt_i32_f32_e32 v40, v40
	s_mov_b32 s4, 0x42ce8ed0
	v_cmp_nlt_f32_e32 vcc, s4, v36
	s_mov_b32 s4, 0xc2b17218
	v_ldexp_f32 v38, v38, v40
	v_cndmask_b32_e32 v38, 0, v38, vcc
	v_mov_b32_e32 v40, 0x7f800000
	v_cmp_ngt_f32_e32 vcc, s4, v36
	v_cndmask_b32_e32 v36, v40, v38, vcc
	v_sub_f32_e32 v63, 1.0, v36
.LBB3_62:
	s_andn2_saveexec_b64 s[2:3], s[2:3]
	s_cbranch_execz .LBB3_64
; %bb.63:
	v_mul_f32_e32 v36, v60, v60
	v_mov_b32_e32 v38, 0x3ba10414
	v_fmac_f32_e32 v38, 0xba1345e1, v36
	v_mov_b32_e32 v40, 0xbcdac9b8
	v_fmac_f32_e32 v40, v36, v38
	;; [unrolled: 2-line block ×5, first 2 shown]
	v_fma_f32 v63, |v60|, v38, |v60|
.LBB3_64:
	s_or_b64 exec, exec, s[2:3]
	s_brev_b32 s2, -2
	v_bfi_b32 v34, s2, v34, v62
	v_add_f32_e32 v34, 1.0, v34
	v_mul_f32_e32 v19, 0.5, v19
	v_mul_f32_e32 v19, v19, v34
	v_bfi_b32 v34, s2, v61, v59
	v_add_f32_e32 v34, 1.0, v34
	v_mul_f32_e32 v18, 0.5, v18
	v_mul_f32_e32 v18, v18, v34
	v_mul_f32_e32 v2, v2, v18
	v_bfi_b32 v18, s2, v58, v57
	v_add_f32_e32 v18, 1.0, v18
	v_mul_f32_e32 v17, 0.5, v17
	v_mul_f32_e32 v17, v17, v18
	v_mul_f32_e32 v1, v1, v17
	v_bfi_b32 v17, s2, v56, v55
	v_mul_f32_e32 v32, 0.5, v32
	v_add_f32_e32 v17, 1.0, v17
	v_mul_f32_e32 v17, v32, v17
	v_mul_f32_e32 v28, v28, v17
	v_bfi_b32 v17, s2, v52, v51
	v_mul_f32_e32 v30, 0.5, v30
	v_add_f32_e32 v17, 1.0, v17
	v_bfi_b32 v18, s2, v54, v53
	v_mul_f32_e32 v17, v30, v17
	v_mul_f32_e32 v31, 0.5, v31
	v_add_f32_e32 v18, 1.0, v18
	v_mul_f32_e32 v26, v26, v17
	v_bfi_b32 v17, s2, v50, v49
	v_mul_f32_e32 v29, 0.5, v29
	v_mul_f32_e32 v18, v31, v18
	v_add_f32_e32 v17, 1.0, v17
	v_mul_f32_e32 v27, v27, v18
	v_mul_f32_e32 v17, v29, v17
	v_bfi_b32 v18, s2, v48, v47
	v_mul_f32_e32 v25, v25, v17
	v_mul_f32_e32 v17, 0.5, v24
	v_add_f32_e32 v18, 1.0, v18
	v_mul_f32_e32 v17, v17, v18
	v_bfi_b32 v18, s2, v46, v45
	v_mul_f32_e32 v12, v12, v17
	v_mul_f32_e32 v17, 0.5, v23
	v_add_f32_e32 v18, 1.0, v18
	;; [unrolled: 5-line block ×4, first 2 shown]
	v_mul_f32_e32 v17, v17, v18
	v_mul_f32_e32 v9, v9, v17
	buffer_load_dword v17, off, s[8:11], 0 offset:12 ; 4-byte Folded Reload
	v_mul_f32_e32 v16, 0.5, v16
	v_mul_f32_e32 v15, 0.5, v15
	;; [unrolled: 1-line block ×4, first 2 shown]
	v_lshlrev_b32_e32 v0, 2, v0
	v_mul_f32_e32 v3, v3, v19
	s_waitcnt vmcnt(0)
	v_bfi_b32 v17, s2, v17, v39
	v_add_f32_e32 v17, 1.0, v17
	v_mul_f32_e32 v16, v16, v17
	v_mul_f32_e32 v8, v8, v16
	buffer_load_dword v16, off, s[8:11], 0 offset:8 ; 4-byte Folded Reload
	s_waitcnt vmcnt(0)
	v_bfi_b32 v16, s2, v16, v37
	v_add_f32_e32 v16, 1.0, v16
	v_mul_f32_e32 v15, v15, v16
	v_mul_f32_e32 v7, v7, v15
	buffer_load_dword v15, off, s[8:11], 0 offset:4 ; 4-byte Folded Reload
	s_waitcnt vmcnt(0)
	v_bfi_b32 v15, s2, v15, v35
	v_add_f32_e32 v15, 1.0, v15
	v_mul_f32_e32 v14, v14, v15
	v_mul_f32_e32 v6, v6, v14
	buffer_load_dword v14, off, s[8:11], 0  ; 4-byte Folded Reload
	s_waitcnt vmcnt(0)
	v_bfi_b32 v14, s2, v14, v33
	v_add_f32_e32 v14, 1.0, v14
	v_mul_f32_e32 v13, v13, v14
	v_bfi_b32 v14, s2, v63, v60
	v_mul_f32_e32 v5, v5, v13
	v_mul_f32_e32 v13, 0.5, v20
	v_add_f32_e32 v14, 1.0, v14
	v_mul_f32_e32 v17, v13, v14
	v_mov_b32_e32 v14, s1
	v_add_co_u32_e32 v13, vcc, s0, v0
	s_lshl_b32 s2, s6, 1
	v_addc_co_u32_e32 v14, vcc, 0, v14, vcc
	v_mov_b32_e32 v0, 0x1400
	v_mad_i64_i32 v[15:16], s[0:1], s2, v0, v[13:14]
	s_or_b32 s0, s2, 1
	v_mad_i64_i32 v[13:14], s[0:1], s0, v0, v[13:14]
	v_mul_f32_e32 v4, v4, v17
	global_store_dwordx4 v[15:16], v[5:8], off
	global_store_dwordx4 v[15:16], v[9:12], off offset:16
	global_store_dwordx4 v[13:14], v[25:28], off
	global_store_dwordx4 v[13:14], v[1:4], off offset:16
	s_endpgm
	.section	.rodata,"a",@progbits
	.p2align	6, 0x0
	.amdhsa_kernel _Z12geglu_kernelIffLi160ELi1280ELi8ELi2EEvPT_PKS0_
		.amdhsa_group_segment_fixed_size 0
		.amdhsa_private_segment_fixed_size 20
		.amdhsa_kernarg_size 16
		.amdhsa_user_sgpr_count 6
		.amdhsa_user_sgpr_private_segment_buffer 1
		.amdhsa_user_sgpr_dispatch_ptr 0
		.amdhsa_user_sgpr_queue_ptr 0
		.amdhsa_user_sgpr_kernarg_segment_ptr 1
		.amdhsa_user_sgpr_dispatch_id 0
		.amdhsa_user_sgpr_flat_scratch_init 0
		.amdhsa_user_sgpr_private_segment_size 0
		.amdhsa_uses_dynamic_stack 0
		.amdhsa_system_sgpr_private_segment_wavefront_offset 1
		.amdhsa_system_sgpr_workgroup_id_x 1
		.amdhsa_system_sgpr_workgroup_id_y 0
		.amdhsa_system_sgpr_workgroup_id_z 0
		.amdhsa_system_sgpr_workgroup_info 0
		.amdhsa_system_vgpr_workitem_id 0
		.amdhsa_next_free_vgpr 64
		.amdhsa_next_free_sgpr 12
		.amdhsa_reserve_vcc 1
		.amdhsa_reserve_flat_scratch 0
		.amdhsa_float_round_mode_32 0
		.amdhsa_float_round_mode_16_64 0
		.amdhsa_float_denorm_mode_32 3
		.amdhsa_float_denorm_mode_16_64 3
		.amdhsa_dx10_clamp 1
		.amdhsa_ieee_mode 1
		.amdhsa_fp16_overflow 0
		.amdhsa_exception_fp_ieee_invalid_op 0
		.amdhsa_exception_fp_denorm_src 0
		.amdhsa_exception_fp_ieee_div_zero 0
		.amdhsa_exception_fp_ieee_overflow 0
		.amdhsa_exception_fp_ieee_underflow 0
		.amdhsa_exception_fp_ieee_inexact 0
		.amdhsa_exception_int_div_zero 0
	.end_amdhsa_kernel
	.section	.text._Z12geglu_kernelIffLi160ELi1280ELi8ELi2EEvPT_PKS0_,"axG",@progbits,_Z12geglu_kernelIffLi160ELi1280ELi8ELi2EEvPT_PKS0_,comdat
.Lfunc_end3:
	.size	_Z12geglu_kernelIffLi160ELi1280ELi8ELi2EEvPT_PKS0_, .Lfunc_end3-_Z12geglu_kernelIffLi160ELi1280ELi8ELi2EEvPT_PKS0_
                                        ; -- End function
	.set _Z12geglu_kernelIffLi160ELi1280ELi8ELi2EEvPT_PKS0_.num_vgpr, 64
	.set _Z12geglu_kernelIffLi160ELi1280ELi8ELi2EEvPT_PKS0_.num_agpr, 0
	.set _Z12geglu_kernelIffLi160ELi1280ELi8ELi2EEvPT_PKS0_.numbered_sgpr, 12
	.set _Z12geglu_kernelIffLi160ELi1280ELi8ELi2EEvPT_PKS0_.num_named_barrier, 0
	.set _Z12geglu_kernelIffLi160ELi1280ELi8ELi2EEvPT_PKS0_.private_seg_size, 20
	.set _Z12geglu_kernelIffLi160ELi1280ELi8ELi2EEvPT_PKS0_.uses_vcc, 1
	.set _Z12geglu_kernelIffLi160ELi1280ELi8ELi2EEvPT_PKS0_.uses_flat_scratch, 0
	.set _Z12geglu_kernelIffLi160ELi1280ELi8ELi2EEvPT_PKS0_.has_dyn_sized_stack, 0
	.set _Z12geglu_kernelIffLi160ELi1280ELi8ELi2EEvPT_PKS0_.has_recursion, 0
	.set _Z12geglu_kernelIffLi160ELi1280ELi8ELi2EEvPT_PKS0_.has_indirect_call, 0
	.section	.AMDGPU.csdata,"",@progbits
; Kernel info:
; codeLenInByte = 6080
; TotalNumSgprs: 16
; NumVgprs: 64
; ScratchSize: 20
; MemoryBound: 0
; FloatMode: 240
; IeeeMode: 1
; LDSByteSize: 0 bytes/workgroup (compile time only)
; SGPRBlocks: 1
; VGPRBlocks: 15
; NumSGPRsForWavesPerEU: 16
; NumVGPRsForWavesPerEU: 64
; Occupancy: 4
; WaveLimiterHint : 0
; COMPUTE_PGM_RSRC2:SCRATCH_EN: 1
; COMPUTE_PGM_RSRC2:USER_SGPR: 6
; COMPUTE_PGM_RSRC2:TRAP_HANDLER: 0
; COMPUTE_PGM_RSRC2:TGID_X_EN: 1
; COMPUTE_PGM_RSRC2:TGID_Y_EN: 0
; COMPUTE_PGM_RSRC2:TGID_Z_EN: 0
; COMPUTE_PGM_RSRC2:TIDIG_COMP_CNT: 0
	.section	.text._Z12geglu_kernelIffLi160ELi2560ELi8ELi2EEvPT_PKS0_,"axG",@progbits,_Z12geglu_kernelIffLi160ELi2560ELi8ELi2EEvPT_PKS0_,comdat
	.protected	_Z12geglu_kernelIffLi160ELi2560ELi8ELi2EEvPT_PKS0_ ; -- Begin function _Z12geglu_kernelIffLi160ELi2560ELi8ELi2EEvPT_PKS0_
	.globl	_Z12geglu_kernelIffLi160ELi2560ELi8ELi2EEvPT_PKS0_
	.p2align	8
	.type	_Z12geglu_kernelIffLi160ELi2560ELi8ELi2EEvPT_PKS0_,@function
_Z12geglu_kernelIffLi160ELi2560ELi8ELi2EEvPT_PKS0_: ; @_Z12geglu_kernelIffLi160ELi2560ELi8ELi2EEvPT_PKS0_
; %bb.0:
	s_mov_b64 s[14:15], s[2:3]
	s_mov_b64 s[12:13], s[0:1]
	s_load_dwordx4 s[0:3], s[4:5], 0x0
	s_add_u32 s12, s12, s7
	s_addc_u32 s13, s13, 0
	s_lshl_b32 s7, s6, 1
	s_mul_i32 s4, s6, 0x5000
	s_mul_hi_u32 s5, s7, 0x2800
	s_waitcnt lgkmcnt(0)
	s_add_u32 s4, s2, s4
	s_addc_u32 s5, s3, s5
	s_or_b32 s7, s7, 1
	v_lshlrev_b32_e32 v33, 5, v0
	s_mul_hi_u32 s8, s7, 0x2800
	s_mulk_i32 s7, 0x2800
	v_mov_b32_e32 v9, s5
	v_add_co_u32_e32 v10, vcc, s4, v33
	s_add_u32 s2, s2, s7
	s_movk_i32 s7, 0x1400
	v_addc_co_u32_e32 v9, vcc, 0, v9, vcc
	v_add_co_u32_e32 v13, vcc, s7, v10
	s_addc_u32 s3, s3, s8
	s_movk_i32 s8, 0x1000
	v_addc_co_u32_e32 v14, vcc, 0, v9, vcc
	v_add_co_u32_e32 v15, vcc, s8, v10
	v_addc_co_u32_e32 v16, vcc, 0, v9, vcc
	v_mov_b32_e32 v10, s3
	v_add_co_u32_e32 v19, vcc, s2, v33
	v_addc_co_u32_e32 v20, vcc, 0, v10, vcc
	v_add_co_u32_e32 v17, vcc, s7, v19
	v_addc_co_u32_e32 v18, vcc, 0, v20, vcc
	;; [unrolled: 2-line block ×3, first 2 shown]
	global_load_dwordx4 v[1:4], v33, s[2:3]
	global_load_dwordx4 v[5:8], v33, s[2:3] offset:16
	global_load_dwordx4 v[25:28], v[15:16], off offset:1024
	global_load_dwordx4 v[9:12], v[13:14], off offset:16
	;; [unrolled: 1-line block ×3, first 2 shown]
	s_nop 0
	global_load_dwordx4 v[13:16], v[17:18], off offset:16
                                        ; kill: killed $vgpr17 killed $vgpr18
                                        ; kill: killed $vgpr19 killed $vgpr20
	global_load_dwordx4 v[21:24], v33, s[4:5] offset:16
	s_nop 0
	global_load_dwordx4 v[17:20], v33, s[4:5]
                                        ; implicit-def: $vgpr33
                                        ; kill: killed $vgpr33
	s_waitcnt vmcnt(7)
	v_mul_f32_e32 v33, 0x3f3504f3, v1
	v_cmp_nlt_f32_e64 s[2:3], |v33|, 1.0
	s_and_saveexec_b64 s[4:5], s[2:3]
	s_xor_b64 s[2:3], exec, s[4:5]
	s_cbranch_execz .LBB4_2
; %bb.1:
	s_mov_b32 s4, 0x378e98ab
	v_mov_b32_e32 v34, 0xb9c68948
	v_fma_f32 v34, |v33|, s4, v34
	s_mov_b32 s4, 0x3b7cd369
	v_fma_f32 v34, |v33|, v34, s4
	s_mov_b32 s4, 0xbcc618b2
	;; [unrolled: 2-line block ×5, first 2 shown]
	v_fma_f32 v34, |v33|, v34, s4
	v_fma_f32 v34, |v33|, v34, |v33|
	s_mov_b32 s4, 0xbfb8aa3b
	v_mul_f32_e32 v35, 0xbfb8aa3b, v34
	v_fma_f32 v36, v34, s4, -v35
	v_rndne_f32_e32 v37, v35
	v_fmac_f32_e32 v36, 0xb2a5705f, v34
	v_sub_f32_e32 v35, v35, v37
	v_add_f32_e32 v35, v35, v36
	v_exp_f32_e32 v35, v35
	v_cvt_i32_f32_e32 v36, v37
	s_mov_b32 s4, 0x42ce8ed0
	v_cmp_nlt_f32_e32 vcc, s4, v34
	s_mov_b32 s4, 0xc2b17218
	v_ldexp_f32 v35, v35, v36
	v_cndmask_b32_e32 v35, 0, v35, vcc
	v_mov_b32_e32 v36, 0x7f800000
	v_cmp_ngt_f32_e32 vcc, s4, v34
	v_cndmask_b32_e32 v34, v36, v35, vcc
	v_sub_f32_e32 v34, 1.0, v34
	buffer_store_dword v34, off, s[12:15], 0 ; 4-byte Folded Spill
.LBB4_2:
	s_andn2_saveexec_b64 s[2:3], s[2:3]
	s_cbranch_execz .LBB4_4
; %bb.3:
	v_mul_f32_e32 v34, v33, v33
	v_mov_b32_e32 v35, 0x3ba10414
	v_fmac_f32_e32 v35, 0xba1345e1, v34
	v_mov_b32_e32 v36, 0xbcdac9b8
	v_fmac_f32_e32 v36, v34, v35
	;; [unrolled: 2-line block ×5, first 2 shown]
	v_fma_f32 v34, |v33|, v35, |v33|
	buffer_store_dword v34, off, s[12:15], 0 ; 4-byte Folded Spill
.LBB4_4:
	s_or_b64 exec, exec, s[2:3]
	v_mul_f32_e32 v35, 0x3f3504f3, v2
	v_cmp_nlt_f32_e64 s[2:3], |v35|, 1.0
                                        ; implicit-def: $vgpr34
                                        ; kill: killed $vgpr34
	s_and_saveexec_b64 s[4:5], s[2:3]
	s_xor_b64 s[2:3], exec, s[4:5]
	s_cbranch_execz .LBB4_6
; %bb.5:
	s_mov_b32 s4, 0x378e98ab
	v_mov_b32_e32 v34, 0xb9c68948
	v_fma_f32 v34, |v35|, s4, v34
	s_mov_b32 s4, 0x3b7cd369
	v_fma_f32 v34, |v35|, v34, s4
	s_mov_b32 s4, 0xbcc618b2
	v_fma_f32 v34, |v35|, v34, s4
	s_mov_b32 s4, 0x3dda74e4
	v_fma_f32 v34, |v35|, v34, s4
	s_mov_b32 s4, 0x3f228afd
	v_fma_f32 v34, |v35|, v34, s4
	s_mov_b32 s4, 0x3e03c728
	v_fma_f32 v34, |v35|, v34, s4
	v_fma_f32 v34, |v35|, v34, |v35|
	s_mov_b32 s4, 0xbfb8aa3b
	v_mul_f32_e32 v36, 0xbfb8aa3b, v34
	v_fma_f32 v37, v34, s4, -v36
	v_rndne_f32_e32 v38, v36
	v_fmac_f32_e32 v37, 0xb2a5705f, v34
	v_sub_f32_e32 v36, v36, v38
	v_add_f32_e32 v36, v36, v37
	v_exp_f32_e32 v36, v36
	v_cvt_i32_f32_e32 v37, v38
	s_mov_b32 s4, 0x42ce8ed0
	v_cmp_nlt_f32_e32 vcc, s4, v34
	s_mov_b32 s4, 0xc2b17218
	v_ldexp_f32 v36, v36, v37
	v_cndmask_b32_e32 v36, 0, v36, vcc
	v_mov_b32_e32 v37, 0x7f800000
	v_cmp_ngt_f32_e32 vcc, s4, v34
	v_cndmask_b32_e32 v34, v37, v36, vcc
	v_sub_f32_e32 v34, 1.0, v34
	buffer_store_dword v34, off, s[12:15], 0 offset:4 ; 4-byte Folded Spill
.LBB4_6:
	s_andn2_saveexec_b64 s[2:3], s[2:3]
	s_cbranch_execz .LBB4_8
; %bb.7:
	v_mul_f32_e32 v34, v35, v35
	v_mov_b32_e32 v36, 0x3ba10414
	v_fmac_f32_e32 v36, 0xba1345e1, v34
	v_mov_b32_e32 v37, 0xbcdac9b8
	v_fmac_f32_e32 v37, v34, v36
	v_mov_b32_e32 v36, 0x3de703be
	v_fmac_f32_e32 v36, v34, v37
	v_mov_b32_e32 v37, 0xbec09330
	v_fmac_f32_e32 v37, v34, v36
	v_mov_b32_e32 v36, 0x3e0375d0
	v_fmac_f32_e32 v36, v34, v37
	v_fma_f32 v34, |v35|, v36, |v35|
	buffer_store_dword v34, off, s[12:15], 0 offset:4 ; 4-byte Folded Spill
.LBB4_8:
	s_or_b64 exec, exec, s[2:3]
	v_mul_f32_e32 v37, 0x3f3504f3, v3
	v_cmp_nlt_f32_e64 s[2:3], |v37|, 1.0
                                        ; implicit-def: $vgpr34
                                        ; kill: killed $vgpr34
	s_and_saveexec_b64 s[4:5], s[2:3]
	s_xor_b64 s[2:3], exec, s[4:5]
	s_cbranch_execz .LBB4_10
; %bb.9:
	s_mov_b32 s4, 0x378e98ab
	v_mov_b32_e32 v34, 0xb9c68948
	v_fma_f32 v34, |v37|, s4, v34
	s_mov_b32 s4, 0x3b7cd369
	v_fma_f32 v34, |v37|, v34, s4
	s_mov_b32 s4, 0xbcc618b2
	v_fma_f32 v34, |v37|, v34, s4
	s_mov_b32 s4, 0x3dda74e4
	v_fma_f32 v34, |v37|, v34, s4
	s_mov_b32 s4, 0x3f228afd
	v_fma_f32 v34, |v37|, v34, s4
	s_mov_b32 s4, 0x3e03c728
	v_fma_f32 v34, |v37|, v34, s4
	v_fma_f32 v34, |v37|, v34, |v37|
	s_mov_b32 s4, 0xbfb8aa3b
	v_mul_f32_e32 v38, 0xbfb8aa3b, v34
	v_fma_f32 v39, v34, s4, -v38
	v_rndne_f32_e32 v40, v38
	v_fmac_f32_e32 v39, 0xb2a5705f, v34
	v_sub_f32_e32 v38, v38, v40
	v_add_f32_e32 v38, v38, v39
	v_exp_f32_e32 v38, v38
	v_cvt_i32_f32_e32 v39, v40
	s_mov_b32 s4, 0x42ce8ed0
	v_cmp_nlt_f32_e32 vcc, s4, v34
	s_mov_b32 s4, 0xc2b17218
	v_ldexp_f32 v38, v38, v39
	v_cndmask_b32_e32 v38, 0, v38, vcc
	v_mov_b32_e32 v39, 0x7f800000
	v_cmp_ngt_f32_e32 vcc, s4, v34
	v_cndmask_b32_e32 v34, v39, v38, vcc
	v_sub_f32_e32 v34, 1.0, v34
	buffer_store_dword v34, off, s[12:15], 0 offset:8 ; 4-byte Folded Spill
.LBB4_10:
	s_andn2_saveexec_b64 s[2:3], s[2:3]
	s_cbranch_execz .LBB4_12
; %bb.11:
	v_mul_f32_e32 v34, v37, v37
	v_mov_b32_e32 v38, 0x3ba10414
	v_fmac_f32_e32 v38, 0xba1345e1, v34
	v_mov_b32_e32 v39, 0xbcdac9b8
	v_fmac_f32_e32 v39, v34, v38
	v_mov_b32_e32 v38, 0x3de703be
	v_fmac_f32_e32 v38, v34, v39
	v_mov_b32_e32 v39, 0xbec09330
	v_fmac_f32_e32 v39, v34, v38
	v_mov_b32_e32 v38, 0x3e0375d0
	v_fmac_f32_e32 v38, v34, v39
	v_fma_f32 v34, |v37|, v38, |v37|
	buffer_store_dword v34, off, s[12:15], 0 offset:8 ; 4-byte Folded Spill
.LBB4_12:
	;; [unrolled: 60-line block ×3, first 2 shown]
	s_or_b64 exec, exec, s[2:3]
	s_waitcnt vmcnt(6)
	v_mul_f32_e32 v41, 0x3f3504f3, v5
	v_cmp_nlt_f32_e64 s[2:3], |v41|, 1.0
                                        ; implicit-def: $vgpr42
	s_and_saveexec_b64 s[4:5], s[2:3]
	s_xor_b64 s[2:3], exec, s[4:5]
	s_cbranch_execz .LBB4_18
; %bb.17:
	s_mov_b32 s4, 0x378e98ab
	v_mov_b32_e32 v34, 0xb9c68948
	v_fma_f32 v34, |v41|, s4, v34
	s_mov_b32 s4, 0x3b7cd369
	v_fma_f32 v34, |v41|, v34, s4
	s_mov_b32 s4, 0xbcc618b2
	;; [unrolled: 2-line block ×5, first 2 shown]
	v_fma_f32 v34, |v41|, v34, s4
	v_fma_f32 v34, |v41|, v34, |v41|
	s_mov_b32 s4, 0xbfb8aa3b
	v_mul_f32_e32 v42, 0xbfb8aa3b, v34
	v_fma_f32 v43, v34, s4, -v42
	v_rndne_f32_e32 v44, v42
	v_fmac_f32_e32 v43, 0xb2a5705f, v34
	v_sub_f32_e32 v42, v42, v44
	v_add_f32_e32 v42, v42, v43
	v_exp_f32_e32 v42, v42
	v_cvt_i32_f32_e32 v43, v44
	s_mov_b32 s4, 0x42ce8ed0
	v_cmp_nlt_f32_e32 vcc, s4, v34
	s_mov_b32 s4, 0xc2b17218
	v_ldexp_f32 v42, v42, v43
	v_cndmask_b32_e32 v42, 0, v42, vcc
	v_mov_b32_e32 v43, 0x7f800000
	v_cmp_ngt_f32_e32 vcc, s4, v34
	v_cndmask_b32_e32 v34, v43, v42, vcc
	v_sub_f32_e32 v42, 1.0, v34
.LBB4_18:
	s_andn2_saveexec_b64 s[2:3], s[2:3]
	s_cbranch_execz .LBB4_20
; %bb.19:
	v_mul_f32_e32 v34, v41, v41
	v_mov_b32_e32 v42, 0x3ba10414
	v_fmac_f32_e32 v42, 0xba1345e1, v34
	v_mov_b32_e32 v43, 0xbcdac9b8
	v_fmac_f32_e32 v43, v34, v42
	;; [unrolled: 2-line block ×5, first 2 shown]
	v_fma_f32 v42, |v41|, v42, |v41|
.LBB4_20:
	s_or_b64 exec, exec, s[2:3]
	v_mul_f32_e32 v43, 0x3f3504f3, v6
	v_cmp_nlt_f32_e64 s[2:3], |v43|, 1.0
                                        ; implicit-def: $vgpr44
	s_and_saveexec_b64 s[4:5], s[2:3]
	s_xor_b64 s[2:3], exec, s[4:5]
	s_cbranch_execz .LBB4_22
; %bb.21:
	s_mov_b32 s4, 0x378e98ab
	v_mov_b32_e32 v34, 0xb9c68948
	v_fma_f32 v34, |v43|, s4, v34
	s_mov_b32 s4, 0x3b7cd369
	v_fma_f32 v34, |v43|, v34, s4
	s_mov_b32 s4, 0xbcc618b2
	;; [unrolled: 2-line block ×5, first 2 shown]
	v_fma_f32 v34, |v43|, v34, s4
	v_fma_f32 v34, |v43|, v34, |v43|
	s_mov_b32 s4, 0xbfb8aa3b
	v_mul_f32_e32 v44, 0xbfb8aa3b, v34
	v_fma_f32 v45, v34, s4, -v44
	v_rndne_f32_e32 v46, v44
	v_fmac_f32_e32 v45, 0xb2a5705f, v34
	v_sub_f32_e32 v44, v44, v46
	v_add_f32_e32 v44, v44, v45
	v_exp_f32_e32 v44, v44
	v_cvt_i32_f32_e32 v45, v46
	s_mov_b32 s4, 0x42ce8ed0
	v_cmp_nlt_f32_e32 vcc, s4, v34
	s_mov_b32 s4, 0xc2b17218
	v_ldexp_f32 v44, v44, v45
	v_cndmask_b32_e32 v44, 0, v44, vcc
	v_mov_b32_e32 v45, 0x7f800000
	v_cmp_ngt_f32_e32 vcc, s4, v34
	v_cndmask_b32_e32 v34, v45, v44, vcc
	v_sub_f32_e32 v44, 1.0, v34
.LBB4_22:
	s_andn2_saveexec_b64 s[2:3], s[2:3]
	s_cbranch_execz .LBB4_24
; %bb.23:
	v_mul_f32_e32 v34, v43, v43
	v_mov_b32_e32 v44, 0x3ba10414
	v_fmac_f32_e32 v44, 0xba1345e1, v34
	v_mov_b32_e32 v45, 0xbcdac9b8
	v_fmac_f32_e32 v45, v34, v44
	;; [unrolled: 2-line block ×5, first 2 shown]
	v_fma_f32 v44, |v43|, v44, |v43|
.LBB4_24:
	s_or_b64 exec, exec, s[2:3]
	v_mul_f32_e32 v45, 0x3f3504f3, v7
	v_cmp_nlt_f32_e64 s[2:3], |v45|, 1.0
                                        ; implicit-def: $vgpr46
	s_and_saveexec_b64 s[4:5], s[2:3]
	s_xor_b64 s[2:3], exec, s[4:5]
	s_cbranch_execz .LBB4_26
; %bb.25:
	s_mov_b32 s4, 0x378e98ab
	v_mov_b32_e32 v34, 0xb9c68948
	v_fma_f32 v34, |v45|, s4, v34
	s_mov_b32 s4, 0x3b7cd369
	v_fma_f32 v34, |v45|, v34, s4
	s_mov_b32 s4, 0xbcc618b2
	;; [unrolled: 2-line block ×5, first 2 shown]
	v_fma_f32 v34, |v45|, v34, s4
	v_fma_f32 v34, |v45|, v34, |v45|
	s_mov_b32 s4, 0xbfb8aa3b
	v_mul_f32_e32 v46, 0xbfb8aa3b, v34
	v_fma_f32 v47, v34, s4, -v46
	v_rndne_f32_e32 v48, v46
	v_fmac_f32_e32 v47, 0xb2a5705f, v34
	v_sub_f32_e32 v46, v46, v48
	v_add_f32_e32 v46, v46, v47
	v_exp_f32_e32 v46, v46
	v_cvt_i32_f32_e32 v47, v48
	s_mov_b32 s4, 0x42ce8ed0
	v_cmp_nlt_f32_e32 vcc, s4, v34
	s_mov_b32 s4, 0xc2b17218
	v_ldexp_f32 v46, v46, v47
	v_cndmask_b32_e32 v46, 0, v46, vcc
	v_mov_b32_e32 v47, 0x7f800000
	v_cmp_ngt_f32_e32 vcc, s4, v34
	v_cndmask_b32_e32 v34, v47, v46, vcc
	v_sub_f32_e32 v46, 1.0, v34
.LBB4_26:
	s_andn2_saveexec_b64 s[2:3], s[2:3]
	s_cbranch_execz .LBB4_28
; %bb.27:
	v_mul_f32_e32 v34, v45, v45
	v_mov_b32_e32 v46, 0x3ba10414
	v_fmac_f32_e32 v46, 0xba1345e1, v34
	v_mov_b32_e32 v47, 0xbcdac9b8
	v_fmac_f32_e32 v47, v34, v46
	;; [unrolled: 2-line block ×5, first 2 shown]
	v_fma_f32 v46, |v45|, v46, |v45|
.LBB4_28:
	s_or_b64 exec, exec, s[2:3]
	v_mul_f32_e32 v47, 0x3f3504f3, v8
	v_cmp_nlt_f32_e64 s[2:3], |v47|, 1.0
                                        ; implicit-def: $vgpr48
	s_and_saveexec_b64 s[4:5], s[2:3]
	s_xor_b64 s[2:3], exec, s[4:5]
	s_cbranch_execz .LBB4_30
; %bb.29:
	s_mov_b32 s4, 0x378e98ab
	v_mov_b32_e32 v34, 0xb9c68948
	v_fma_f32 v34, |v47|, s4, v34
	s_mov_b32 s4, 0x3b7cd369
	v_fma_f32 v34, |v47|, v34, s4
	s_mov_b32 s4, 0xbcc618b2
	;; [unrolled: 2-line block ×5, first 2 shown]
	v_fma_f32 v34, |v47|, v34, s4
	v_fma_f32 v34, |v47|, v34, |v47|
	s_mov_b32 s4, 0xbfb8aa3b
	v_mul_f32_e32 v48, 0xbfb8aa3b, v34
	v_fma_f32 v49, v34, s4, -v48
	v_rndne_f32_e32 v50, v48
	v_fmac_f32_e32 v49, 0xb2a5705f, v34
	v_sub_f32_e32 v48, v48, v50
	v_add_f32_e32 v48, v48, v49
	v_exp_f32_e32 v48, v48
	v_cvt_i32_f32_e32 v49, v50
	s_mov_b32 s4, 0x42ce8ed0
	v_cmp_nlt_f32_e32 vcc, s4, v34
	s_mov_b32 s4, 0xc2b17218
	v_ldexp_f32 v48, v48, v49
	v_cndmask_b32_e32 v48, 0, v48, vcc
	v_mov_b32_e32 v49, 0x7f800000
	v_cmp_ngt_f32_e32 vcc, s4, v34
	v_cndmask_b32_e32 v34, v49, v48, vcc
	v_sub_f32_e32 v48, 1.0, v34
.LBB4_30:
	s_andn2_saveexec_b64 s[2:3], s[2:3]
	s_cbranch_execz .LBB4_32
; %bb.31:
	v_mul_f32_e32 v34, v47, v47
	v_mov_b32_e32 v48, 0x3ba10414
	v_fmac_f32_e32 v48, 0xba1345e1, v34
	v_mov_b32_e32 v49, 0xbcdac9b8
	v_fmac_f32_e32 v49, v34, v48
	;; [unrolled: 2-line block ×5, first 2 shown]
	v_fma_f32 v48, |v47|, v48, |v47|
.LBB4_32:
	s_or_b64 exec, exec, s[2:3]
	s_waitcnt vmcnt(3)
	v_mul_f32_e32 v49, 0x3f3504f3, v29
	v_cmp_nlt_f32_e64 s[2:3], |v49|, 1.0
                                        ; implicit-def: $vgpr50
	s_and_saveexec_b64 s[4:5], s[2:3]
	s_xor_b64 s[2:3], exec, s[4:5]
	s_cbranch_execz .LBB4_34
; %bb.33:
	s_mov_b32 s4, 0x378e98ab
	v_mov_b32_e32 v34, 0xb9c68948
	v_fma_f32 v34, |v49|, s4, v34
	s_mov_b32 s4, 0x3b7cd369
	v_fma_f32 v34, |v49|, v34, s4
	s_mov_b32 s4, 0xbcc618b2
	;; [unrolled: 2-line block ×5, first 2 shown]
	v_fma_f32 v34, |v49|, v34, s4
	v_fma_f32 v34, |v49|, v34, |v49|
	s_mov_b32 s4, 0xbfb8aa3b
	v_mul_f32_e32 v50, 0xbfb8aa3b, v34
	v_fma_f32 v51, v34, s4, -v50
	v_rndne_f32_e32 v52, v50
	v_fmac_f32_e32 v51, 0xb2a5705f, v34
	v_sub_f32_e32 v50, v50, v52
	v_add_f32_e32 v50, v50, v51
	v_exp_f32_e32 v50, v50
	v_cvt_i32_f32_e32 v51, v52
	s_mov_b32 s4, 0x42ce8ed0
	v_cmp_nlt_f32_e32 vcc, s4, v34
	s_mov_b32 s4, 0xc2b17218
	v_ldexp_f32 v50, v50, v51
	v_cndmask_b32_e32 v50, 0, v50, vcc
	v_mov_b32_e32 v51, 0x7f800000
	v_cmp_ngt_f32_e32 vcc, s4, v34
	v_cndmask_b32_e32 v34, v51, v50, vcc
	v_sub_f32_e32 v50, 1.0, v34
.LBB4_34:
	s_andn2_saveexec_b64 s[2:3], s[2:3]
	s_cbranch_execz .LBB4_36
; %bb.35:
	v_mul_f32_e32 v34, v49, v49
	v_mov_b32_e32 v50, 0x3ba10414
	v_fmac_f32_e32 v50, 0xba1345e1, v34
	v_mov_b32_e32 v51, 0xbcdac9b8
	v_fmac_f32_e32 v51, v34, v50
	;; [unrolled: 2-line block ×5, first 2 shown]
	v_fma_f32 v50, |v49|, v50, |v49|
.LBB4_36:
	s_or_b64 exec, exec, s[2:3]
	v_mul_f32_e32 v51, 0x3f3504f3, v30
	v_cmp_nlt_f32_e64 s[2:3], |v51|, 1.0
                                        ; implicit-def: $vgpr52
	s_and_saveexec_b64 s[4:5], s[2:3]
	s_xor_b64 s[2:3], exec, s[4:5]
	s_cbranch_execz .LBB4_38
; %bb.37:
	s_mov_b32 s4, 0x378e98ab
	v_mov_b32_e32 v34, 0xb9c68948
	v_fma_f32 v34, |v51|, s4, v34
	s_mov_b32 s4, 0x3b7cd369
	v_fma_f32 v34, |v51|, v34, s4
	s_mov_b32 s4, 0xbcc618b2
	;; [unrolled: 2-line block ×5, first 2 shown]
	v_fma_f32 v34, |v51|, v34, s4
	v_fma_f32 v34, |v51|, v34, |v51|
	s_mov_b32 s4, 0xbfb8aa3b
	v_mul_f32_e32 v52, 0xbfb8aa3b, v34
	v_fma_f32 v53, v34, s4, -v52
	v_rndne_f32_e32 v54, v52
	v_fmac_f32_e32 v53, 0xb2a5705f, v34
	v_sub_f32_e32 v52, v52, v54
	v_add_f32_e32 v52, v52, v53
	v_exp_f32_e32 v52, v52
	v_cvt_i32_f32_e32 v53, v54
	s_mov_b32 s4, 0x42ce8ed0
	v_cmp_nlt_f32_e32 vcc, s4, v34
	s_mov_b32 s4, 0xc2b17218
	v_ldexp_f32 v52, v52, v53
	v_cndmask_b32_e32 v52, 0, v52, vcc
	v_mov_b32_e32 v53, 0x7f800000
	v_cmp_ngt_f32_e32 vcc, s4, v34
	v_cndmask_b32_e32 v34, v53, v52, vcc
	v_sub_f32_e32 v52, 1.0, v34
.LBB4_38:
	s_andn2_saveexec_b64 s[2:3], s[2:3]
	s_cbranch_execz .LBB4_40
; %bb.39:
	v_mul_f32_e32 v34, v51, v51
	v_mov_b32_e32 v52, 0x3ba10414
	v_fmac_f32_e32 v52, 0xba1345e1, v34
	v_mov_b32_e32 v53, 0xbcdac9b8
	v_fmac_f32_e32 v53, v34, v52
	;; [unrolled: 2-line block ×5, first 2 shown]
	v_fma_f32 v52, |v51|, v52, |v51|
.LBB4_40:
	s_or_b64 exec, exec, s[2:3]
	v_mul_f32_e32 v53, 0x3f3504f3, v31
	v_cmp_nlt_f32_e64 s[2:3], |v53|, 1.0
                                        ; implicit-def: $vgpr54
	s_and_saveexec_b64 s[4:5], s[2:3]
	s_xor_b64 s[2:3], exec, s[4:5]
	s_cbranch_execz .LBB4_42
; %bb.41:
	s_mov_b32 s4, 0x378e98ab
	v_mov_b32_e32 v34, 0xb9c68948
	v_fma_f32 v34, |v53|, s4, v34
	s_mov_b32 s4, 0x3b7cd369
	v_fma_f32 v34, |v53|, v34, s4
	s_mov_b32 s4, 0xbcc618b2
	;; [unrolled: 2-line block ×5, first 2 shown]
	v_fma_f32 v34, |v53|, v34, s4
	v_fma_f32 v34, |v53|, v34, |v53|
	s_mov_b32 s4, 0xbfb8aa3b
	v_mul_f32_e32 v54, 0xbfb8aa3b, v34
	v_fma_f32 v55, v34, s4, -v54
	v_rndne_f32_e32 v56, v54
	v_fmac_f32_e32 v55, 0xb2a5705f, v34
	v_sub_f32_e32 v54, v54, v56
	v_add_f32_e32 v54, v54, v55
	v_exp_f32_e32 v54, v54
	v_cvt_i32_f32_e32 v55, v56
	s_mov_b32 s4, 0x42ce8ed0
	v_cmp_nlt_f32_e32 vcc, s4, v34
	s_mov_b32 s4, 0xc2b17218
	v_ldexp_f32 v54, v54, v55
	v_cndmask_b32_e32 v54, 0, v54, vcc
	v_mov_b32_e32 v55, 0x7f800000
	v_cmp_ngt_f32_e32 vcc, s4, v34
	v_cndmask_b32_e32 v34, v55, v54, vcc
	v_sub_f32_e32 v54, 1.0, v34
.LBB4_42:
	s_andn2_saveexec_b64 s[2:3], s[2:3]
	s_cbranch_execz .LBB4_44
; %bb.43:
	v_mul_f32_e32 v34, v53, v53
	v_mov_b32_e32 v54, 0x3ba10414
	v_fmac_f32_e32 v54, 0xba1345e1, v34
	v_mov_b32_e32 v55, 0xbcdac9b8
	v_fmac_f32_e32 v55, v34, v54
	;; [unrolled: 2-line block ×5, first 2 shown]
	v_fma_f32 v54, |v53|, v54, |v53|
.LBB4_44:
	s_or_b64 exec, exec, s[2:3]
	v_mul_f32_e32 v55, 0x3f3504f3, v32
	v_cmp_nlt_f32_e64 s[2:3], |v55|, 1.0
                                        ; implicit-def: $vgpr56
	s_and_saveexec_b64 s[4:5], s[2:3]
	s_xor_b64 s[2:3], exec, s[4:5]
	s_cbranch_execz .LBB4_46
; %bb.45:
	s_mov_b32 s4, 0x378e98ab
	v_mov_b32_e32 v34, 0xb9c68948
	v_fma_f32 v34, |v55|, s4, v34
	s_mov_b32 s4, 0x3b7cd369
	v_fma_f32 v34, |v55|, v34, s4
	s_mov_b32 s4, 0xbcc618b2
	;; [unrolled: 2-line block ×5, first 2 shown]
	v_fma_f32 v34, |v55|, v34, s4
	v_fma_f32 v34, |v55|, v34, |v55|
	s_mov_b32 s4, 0xbfb8aa3b
	v_mul_f32_e32 v56, 0xbfb8aa3b, v34
	v_fma_f32 v57, v34, s4, -v56
	v_rndne_f32_e32 v58, v56
	v_fmac_f32_e32 v57, 0xb2a5705f, v34
	v_sub_f32_e32 v56, v56, v58
	v_add_f32_e32 v56, v56, v57
	v_exp_f32_e32 v56, v56
	v_cvt_i32_f32_e32 v57, v58
	s_mov_b32 s4, 0x42ce8ed0
	v_cmp_nlt_f32_e32 vcc, s4, v34
	s_mov_b32 s4, 0xc2b17218
	v_ldexp_f32 v56, v56, v57
	v_cndmask_b32_e32 v56, 0, v56, vcc
	v_mov_b32_e32 v57, 0x7f800000
	v_cmp_ngt_f32_e32 vcc, s4, v34
	v_cndmask_b32_e32 v34, v57, v56, vcc
	v_sub_f32_e32 v56, 1.0, v34
.LBB4_46:
	s_andn2_saveexec_b64 s[2:3], s[2:3]
	s_cbranch_execz .LBB4_48
; %bb.47:
	v_mul_f32_e32 v34, v55, v55
	v_mov_b32_e32 v56, 0x3ba10414
	v_fmac_f32_e32 v56, 0xba1345e1, v34
	v_mov_b32_e32 v57, 0xbcdac9b8
	v_fmac_f32_e32 v57, v34, v56
	;; [unrolled: 2-line block ×5, first 2 shown]
	v_fma_f32 v56, |v55|, v56, |v55|
.LBB4_48:
	s_or_b64 exec, exec, s[2:3]
	s_waitcnt vmcnt(2)
	v_mul_f32_e32 v57, 0x3f3504f3, v13
	v_cmp_nlt_f32_e64 s[2:3], |v57|, 1.0
                                        ; implicit-def: $vgpr58
	s_and_saveexec_b64 s[4:5], s[2:3]
	s_xor_b64 s[2:3], exec, s[4:5]
	s_cbranch_execz .LBB4_50
; %bb.49:
	s_mov_b32 s4, 0x378e98ab
	v_mov_b32_e32 v34, 0xb9c68948
	v_fma_f32 v34, |v57|, s4, v34
	s_mov_b32 s4, 0x3b7cd369
	v_fma_f32 v34, |v57|, v34, s4
	s_mov_b32 s4, 0xbcc618b2
	;; [unrolled: 2-line block ×5, first 2 shown]
	v_fma_f32 v34, |v57|, v34, s4
	v_fma_f32 v34, |v57|, v34, |v57|
	s_mov_b32 s4, 0xbfb8aa3b
	v_mul_f32_e32 v58, 0xbfb8aa3b, v34
	v_fma_f32 v59, v34, s4, -v58
	v_rndne_f32_e32 v60, v58
	v_fmac_f32_e32 v59, 0xb2a5705f, v34
	v_sub_f32_e32 v58, v58, v60
	v_add_f32_e32 v58, v58, v59
	v_exp_f32_e32 v58, v58
	v_cvt_i32_f32_e32 v59, v60
	s_mov_b32 s4, 0x42ce8ed0
	v_cmp_nlt_f32_e32 vcc, s4, v34
	s_mov_b32 s4, 0xc2b17218
	v_ldexp_f32 v58, v58, v59
	v_cndmask_b32_e32 v58, 0, v58, vcc
	v_mov_b32_e32 v59, 0x7f800000
	v_cmp_ngt_f32_e32 vcc, s4, v34
	v_cndmask_b32_e32 v34, v59, v58, vcc
	v_sub_f32_e32 v58, 1.0, v34
.LBB4_50:
	s_andn2_saveexec_b64 s[2:3], s[2:3]
	s_cbranch_execz .LBB4_52
; %bb.51:
	v_mul_f32_e32 v34, v57, v57
	v_mov_b32_e32 v58, 0x3ba10414
	v_fmac_f32_e32 v58, 0xba1345e1, v34
	v_mov_b32_e32 v59, 0xbcdac9b8
	v_fmac_f32_e32 v59, v34, v58
	;; [unrolled: 2-line block ×5, first 2 shown]
	v_fma_f32 v58, |v57|, v58, |v57|
.LBB4_52:
	s_or_b64 exec, exec, s[2:3]
	v_mul_f32_e32 v59, 0x3f3504f3, v14
	v_cmp_nlt_f32_e64 s[2:3], |v59|, 1.0
                                        ; implicit-def: $vgpr61
	s_and_saveexec_b64 s[4:5], s[2:3]
	s_xor_b64 s[2:3], exec, s[4:5]
	s_cbranch_execz .LBB4_54
; %bb.53:
	s_mov_b32 s4, 0x378e98ab
	v_mov_b32_e32 v34, 0xb9c68948
	v_fma_f32 v34, |v59|, s4, v34
	s_mov_b32 s4, 0x3b7cd369
	v_fma_f32 v34, |v59|, v34, s4
	s_mov_b32 s4, 0xbcc618b2
	;; [unrolled: 2-line block ×5, first 2 shown]
	v_fma_f32 v34, |v59|, v34, s4
	v_fma_f32 v34, |v59|, v34, |v59|
	s_mov_b32 s4, 0xbfb8aa3b
	v_mul_f32_e32 v60, 0xbfb8aa3b, v34
	v_fma_f32 v61, v34, s4, -v60
	v_rndne_f32_e32 v62, v60
	v_fmac_f32_e32 v61, 0xb2a5705f, v34
	v_sub_f32_e32 v60, v60, v62
	v_add_f32_e32 v60, v60, v61
	v_exp_f32_e32 v60, v60
	v_cvt_i32_f32_e32 v61, v62
	s_mov_b32 s4, 0x42ce8ed0
	v_cmp_nlt_f32_e32 vcc, s4, v34
	s_mov_b32 s4, 0xc2b17218
	v_ldexp_f32 v60, v60, v61
	v_cndmask_b32_e32 v60, 0, v60, vcc
	v_mov_b32_e32 v61, 0x7f800000
	v_cmp_ngt_f32_e32 vcc, s4, v34
	v_cndmask_b32_e32 v34, v61, v60, vcc
	v_sub_f32_e32 v61, 1.0, v34
.LBB4_54:
	s_andn2_saveexec_b64 s[2:3], s[2:3]
	s_cbranch_execz .LBB4_56
; %bb.55:
	v_mul_f32_e32 v34, v59, v59
	v_mov_b32_e32 v60, 0x3ba10414
	v_fmac_f32_e32 v60, 0xba1345e1, v34
	v_mov_b32_e32 v61, 0xbcdac9b8
	v_fmac_f32_e32 v61, v34, v60
	v_mov_b32_e32 v60, 0x3de703be
	v_fmac_f32_e32 v60, v34, v61
	v_mov_b32_e32 v61, 0xbec09330
	v_fmac_f32_e32 v61, v34, v60
	v_mov_b32_e32 v60, 0x3e0375d0
	v_fmac_f32_e32 v60, v34, v61
	v_fma_f32 v61, |v59|, v60, |v59|
.LBB4_56:
	s_or_b64 exec, exec, s[2:3]
	v_mul_f32_e32 v62, 0x3f3504f3, v15
	v_cmp_nlt_f32_e64 s[2:3], |v62|, 1.0
                                        ; implicit-def: $vgpr34
	s_and_saveexec_b64 s[4:5], s[2:3]
	s_xor_b64 s[2:3], exec, s[4:5]
	s_cbranch_execz .LBB4_58
; %bb.57:
	s_mov_b32 s4, 0x378e98ab
	v_mov_b32_e32 v34, 0xb9c68948
	v_fma_f32 v34, |v62|, s4, v34
	s_mov_b32 s4, 0x3b7cd369
	v_fma_f32 v34, |v62|, v34, s4
	s_mov_b32 s4, 0xbcc618b2
	;; [unrolled: 2-line block ×5, first 2 shown]
	v_fma_f32 v34, |v62|, v34, s4
	v_fma_f32 v34, |v62|, v34, |v62|
	s_mov_b32 s4, 0xbfb8aa3b
	v_mul_f32_e32 v60, 0xbfb8aa3b, v34
	v_fma_f32 v63, v34, s4, -v60
	v_rndne_f32_e32 v36, v60
	v_fmac_f32_e32 v63, 0xb2a5705f, v34
	v_sub_f32_e32 v60, v60, v36
	v_add_f32_e32 v60, v60, v63
	v_exp_f32_e32 v60, v60
	v_cvt_i32_f32_e32 v36, v36
	s_mov_b32 s4, 0x42ce8ed0
	v_cmp_nlt_f32_e32 vcc, s4, v34
	s_mov_b32 s4, 0xc2b17218
	v_ldexp_f32 v36, v60, v36
	v_cndmask_b32_e32 v36, 0, v36, vcc
	v_mov_b32_e32 v60, 0x7f800000
	v_cmp_ngt_f32_e32 vcc, s4, v34
	v_cndmask_b32_e32 v34, v60, v36, vcc
	v_sub_f32_e32 v34, 1.0, v34
.LBB4_58:
	s_andn2_saveexec_b64 s[2:3], s[2:3]
	s_cbranch_execz .LBB4_60
; %bb.59:
	v_mul_f32_e32 v34, v62, v62
	v_mov_b32_e32 v36, 0x3ba10414
	v_fmac_f32_e32 v36, 0xba1345e1, v34
	v_mov_b32_e32 v60, 0xbcdac9b8
	v_fmac_f32_e32 v60, v34, v36
	v_mov_b32_e32 v36, 0x3de703be
	v_fmac_f32_e32 v36, v34, v60
	v_mov_b32_e32 v60, 0xbec09330
	v_fmac_f32_e32 v60, v34, v36
	v_mov_b32_e32 v36, 0x3e0375d0
	v_fmac_f32_e32 v36, v34, v60
	v_fma_f32 v34, |v62|, v36, |v62|
.LBB4_60:
	s_or_b64 exec, exec, s[2:3]
	v_mul_f32_e32 v60, 0x3f3504f3, v16
	v_lshlrev_b32_e32 v0, 3, v0
	v_cmp_nlt_f32_e64 s[2:3], |v60|, 1.0
                                        ; implicit-def: $vgpr63
	s_and_saveexec_b64 s[4:5], s[2:3]
	s_xor_b64 s[2:3], exec, s[4:5]
	s_cbranch_execz .LBB4_62
; %bb.61:
	s_mov_b32 s4, 0x378e98ab
	v_mov_b32_e32 v36, 0xb9c68948
	v_fma_f32 v36, |v60|, s4, v36
	s_mov_b32 s4, 0x3b7cd369
	v_fma_f32 v36, |v60|, v36, s4
	s_mov_b32 s4, 0xbcc618b2
	;; [unrolled: 2-line block ×5, first 2 shown]
	v_fma_f32 v36, |v60|, v36, s4
	v_fma_f32 v36, |v60|, v36, |v60|
	s_mov_b32 s4, 0xbfb8aa3b
	v_mul_f32_e32 v63, 0xbfb8aa3b, v36
	v_fma_f32 v38, v36, s4, -v63
	v_rndne_f32_e32 v40, v63
	v_fmac_f32_e32 v38, 0xb2a5705f, v36
	v_sub_f32_e32 v63, v63, v40
	v_add_f32_e32 v38, v63, v38
	v_exp_f32_e32 v38, v38
	v_cvt_i32_f32_e32 v40, v40
	s_mov_b32 s4, 0x42ce8ed0
	v_cmp_nlt_f32_e32 vcc, s4, v36
	s_mov_b32 s4, 0xc2b17218
	v_ldexp_f32 v38, v38, v40
	v_cndmask_b32_e32 v38, 0, v38, vcc
	v_mov_b32_e32 v40, 0x7f800000
	v_cmp_ngt_f32_e32 vcc, s4, v36
	v_cndmask_b32_e32 v36, v40, v38, vcc
	v_sub_f32_e32 v63, 1.0, v36
.LBB4_62:
	s_andn2_saveexec_b64 s[2:3], s[2:3]
	s_cbranch_execz .LBB4_64
; %bb.63:
	v_mul_f32_e32 v36, v60, v60
	v_mov_b32_e32 v38, 0x3ba10414
	v_fmac_f32_e32 v38, 0xba1345e1, v36
	v_mov_b32_e32 v40, 0xbcdac9b8
	v_fmac_f32_e32 v40, v36, v38
	;; [unrolled: 2-line block ×5, first 2 shown]
	v_fma_f32 v63, |v60|, v38, |v60|
.LBB4_64:
	s_or_b64 exec, exec, s[2:3]
	s_brev_b32 s2, -2
	v_bfi_b32 v34, s2, v34, v62
	v_add_f32_e32 v34, 1.0, v34
	v_mul_f32_e32 v15, 0.5, v15
	v_mul_f32_e32 v15, v15, v34
	v_bfi_b32 v34, s2, v61, v59
	v_add_f32_e32 v34, 1.0, v34
	v_mul_f32_e32 v14, 0.5, v14
	v_mul_f32_e32 v14, v14, v34
	v_mul_f32_e32 v10, v10, v14
	v_bfi_b32 v14, s2, v58, v57
	v_add_f32_e32 v14, 1.0, v14
	v_mul_f32_e32 v13, 0.5, v13
	v_mul_f32_e32 v13, v13, v14
	v_mul_f32_e32 v9, v9, v13
	v_bfi_b32 v13, s2, v56, v55
	v_mul_f32_e32 v32, 0.5, v32
	v_add_f32_e32 v13, 1.0, v13
	v_mul_f32_e32 v13, v32, v13
	v_mul_f32_e32 v28, v28, v13
	v_bfi_b32 v13, s2, v52, v51
	v_mul_f32_e32 v30, 0.5, v30
	v_add_f32_e32 v13, 1.0, v13
	;; [unrolled: 5-line block ×4, first 2 shown]
	v_mul_f32_e32 v8, v8, v13
	v_bfi_b32 v13, s2, v46, v45
	v_mul_f32_e32 v7, 0.5, v7
	v_add_f32_e32 v13, 1.0, v13
	v_mul_f32_e32 v7, v7, v13
	v_bfi_b32 v13, s2, v44, v43
	v_mul_f32_e32 v6, 0.5, v6
	v_add_f32_e32 v13, 1.0, v13
	;; [unrolled: 4-line block ×3, first 2 shown]
	v_mul_f32_e32 v5, v5, v13
	buffer_load_dword v13, off, s[12:15], 0 offset:12 ; 4-byte Folded Reload
	v_mul_f32_e32 v4, 0.5, v4
	v_mul_f32_e32 v3, 0.5, v3
	;; [unrolled: 1-line block ×3, first 2 shown]
	v_bfi_b32 v14, s2, v54, v53
	v_mul_f32_e32 v31, 0.5, v31
	v_add_f32_e32 v14, 1.0, v14
	v_mul_f32_e32 v14, v31, v14
	v_mul_f32_e32 v27, v27, v14
	v_bfi_b32 v14, s2, v63, v60
	v_mul_f32_e32 v1, 0.5, v1
	v_add_f32_e32 v14, 1.0, v14
	v_lshlrev_b32_e32 v0, 2, v0
	s_waitcnt vmcnt(2)
	v_mul_f32_e32 v8, v24, v8
	v_mul_f32_e32 v7, v23, v7
	;; [unrolled: 1-line block ×5, first 2 shown]
	s_waitcnt vmcnt(0)
	v_bfi_b32 v13, s2, v13, v39
	v_add_f32_e32 v13, 1.0, v13
	v_mul_f32_e32 v4, v4, v13
	buffer_load_dword v13, off, s[12:15], 0 offset:8 ; 4-byte Folded Reload
	v_mul_f32_e32 v4, v20, v4
	s_waitcnt vmcnt(0)
	v_bfi_b32 v13, s2, v13, v37
	v_add_f32_e32 v13, 1.0, v13
	v_mul_f32_e32 v3, v3, v13
	buffer_load_dword v13, off, s[12:15], 0 offset:4 ; 4-byte Folded Reload
	v_mul_f32_e32 v3, v19, v3
	s_waitcnt vmcnt(0)
	v_bfi_b32 v13, s2, v13, v35
	v_add_f32_e32 v13, 1.0, v13
	v_mul_f32_e32 v2, v2, v13
	buffer_load_dword v13, off, s[12:15], 0 ; 4-byte Folded Reload
	v_mul_f32_e32 v2, v18, v2
	s_waitcnt vmcnt(0)
	v_bfi_b32 v13, s2, v13, v33
	s_and_b32 s2, s6, 0x7fffffff
	v_add_f32_e32 v13, 1.0, v13
	s_mul_hi_u32 s3, s2, 0x2800
	s_mulk_i32 s2, 0x2800
	v_mul_f32_e32 v1, v1, v13
	v_mul_f32_e32 v13, 0.5, v16
	s_add_u32 s0, s0, s2
	v_mul_f32_e32 v13, v13, v14
	s_addc_u32 s1, s1, s3
	v_mul_f32_e32 v1, v17, v1
	v_mul_f32_e32 v12, v12, v13
	v_mov_b32_e32 v13, s1
	v_add_co_u32_e32 v14, vcc, s0, v0
	v_addc_co_u32_e32 v13, vcc, 0, v13, vcc
	global_store_dwordx4 v0, v[1:4], s[0:1]
	global_store_dwordx4 v0, v[5:8], s[0:1] offset:16
	s_movk_i32 s0, 0x1400
	v_add_co_u32_e32 v0, vcc, s0, v14
	v_addc_co_u32_e32 v1, vcc, 0, v13, vcc
	v_add_co_u32_e32 v2, vcc, 0x1000, v14
	v_addc_co_u32_e32 v3, vcc, 0, v13, vcc
	global_store_dwordx4 v[2:3], v[25:28], off offset:1024
	global_store_dwordx4 v[0:1], v[9:12], off offset:16
	s_endpgm
	.section	.rodata,"a",@progbits
	.p2align	6, 0x0
	.amdhsa_kernel _Z12geglu_kernelIffLi160ELi2560ELi8ELi2EEvPT_PKS0_
		.amdhsa_group_segment_fixed_size 0
		.amdhsa_private_segment_fixed_size 20
		.amdhsa_kernarg_size 16
		.amdhsa_user_sgpr_count 6
		.amdhsa_user_sgpr_private_segment_buffer 1
		.amdhsa_user_sgpr_dispatch_ptr 0
		.amdhsa_user_sgpr_queue_ptr 0
		.amdhsa_user_sgpr_kernarg_segment_ptr 1
		.amdhsa_user_sgpr_dispatch_id 0
		.amdhsa_user_sgpr_flat_scratch_init 0
		.amdhsa_user_sgpr_private_segment_size 0
		.amdhsa_uses_dynamic_stack 0
		.amdhsa_system_sgpr_private_segment_wavefront_offset 1
		.amdhsa_system_sgpr_workgroup_id_x 1
		.amdhsa_system_sgpr_workgroup_id_y 0
		.amdhsa_system_sgpr_workgroup_id_z 0
		.amdhsa_system_sgpr_workgroup_info 0
		.amdhsa_system_vgpr_workitem_id 0
		.amdhsa_next_free_vgpr 64
		.amdhsa_next_free_sgpr 16
		.amdhsa_reserve_vcc 1
		.amdhsa_reserve_flat_scratch 0
		.amdhsa_float_round_mode_32 0
		.amdhsa_float_round_mode_16_64 0
		.amdhsa_float_denorm_mode_32 3
		.amdhsa_float_denorm_mode_16_64 3
		.amdhsa_dx10_clamp 1
		.amdhsa_ieee_mode 1
		.amdhsa_fp16_overflow 0
		.amdhsa_exception_fp_ieee_invalid_op 0
		.amdhsa_exception_fp_denorm_src 0
		.amdhsa_exception_fp_ieee_div_zero 0
		.amdhsa_exception_fp_ieee_overflow 0
		.amdhsa_exception_fp_ieee_underflow 0
		.amdhsa_exception_fp_ieee_inexact 0
		.amdhsa_exception_int_div_zero 0
	.end_amdhsa_kernel
	.section	.text._Z12geglu_kernelIffLi160ELi2560ELi8ELi2EEvPT_PKS0_,"axG",@progbits,_Z12geglu_kernelIffLi160ELi2560ELi8ELi2EEvPT_PKS0_,comdat
.Lfunc_end4:
	.size	_Z12geglu_kernelIffLi160ELi2560ELi8ELi2EEvPT_PKS0_, .Lfunc_end4-_Z12geglu_kernelIffLi160ELi2560ELi8ELi2EEvPT_PKS0_
                                        ; -- End function
	.set _Z12geglu_kernelIffLi160ELi2560ELi8ELi2EEvPT_PKS0_.num_vgpr, 64
	.set _Z12geglu_kernelIffLi160ELi2560ELi8ELi2EEvPT_PKS0_.num_agpr, 0
	.set _Z12geglu_kernelIffLi160ELi2560ELi8ELi2EEvPT_PKS0_.numbered_sgpr, 16
	.set _Z12geglu_kernelIffLi160ELi2560ELi8ELi2EEvPT_PKS0_.num_named_barrier, 0
	.set _Z12geglu_kernelIffLi160ELi2560ELi8ELi2EEvPT_PKS0_.private_seg_size, 20
	.set _Z12geglu_kernelIffLi160ELi2560ELi8ELi2EEvPT_PKS0_.uses_vcc, 1
	.set _Z12geglu_kernelIffLi160ELi2560ELi8ELi2EEvPT_PKS0_.uses_flat_scratch, 0
	.set _Z12geglu_kernelIffLi160ELi2560ELi8ELi2EEvPT_PKS0_.has_dyn_sized_stack, 0
	.set _Z12geglu_kernelIffLi160ELi2560ELi8ELi2EEvPT_PKS0_.has_recursion, 0
	.set _Z12geglu_kernelIffLi160ELi2560ELi8ELi2EEvPT_PKS0_.has_indirect_call, 0
	.section	.AMDGPU.csdata,"",@progbits
; Kernel info:
; codeLenInByte = 6164
; TotalNumSgprs: 20
; NumVgprs: 64
; ScratchSize: 20
; MemoryBound: 0
; FloatMode: 240
; IeeeMode: 1
; LDSByteSize: 0 bytes/workgroup (compile time only)
; SGPRBlocks: 2
; VGPRBlocks: 15
; NumSGPRsForWavesPerEU: 20
; NumVGPRsForWavesPerEU: 64
; Occupancy: 4
; WaveLimiterHint : 1
; COMPUTE_PGM_RSRC2:SCRATCH_EN: 1
; COMPUTE_PGM_RSRC2:USER_SGPR: 6
; COMPUTE_PGM_RSRC2:TRAP_HANDLER: 0
; COMPUTE_PGM_RSRC2:TGID_X_EN: 1
; COMPUTE_PGM_RSRC2:TGID_Y_EN: 0
; COMPUTE_PGM_RSRC2:TGID_Z_EN: 0
; COMPUTE_PGM_RSRC2:TIDIG_COMP_CNT: 0
	.section	.text._Z12geglu_kernelIffLi160ELi5120ELi8ELi2EEvPT_PKS0_,"axG",@progbits,_Z12geglu_kernelIffLi160ELi5120ELi8ELi2EEvPT_PKS0_,comdat
	.protected	_Z12geglu_kernelIffLi160ELi5120ELi8ELi2EEvPT_PKS0_ ; -- Begin function _Z12geglu_kernelIffLi160ELi5120ELi8ELi2EEvPT_PKS0_
	.globl	_Z12geglu_kernelIffLi160ELi5120ELi8ELi2EEvPT_PKS0_
	.p2align	8
	.type	_Z12geglu_kernelIffLi160ELi5120ELi8ELi2EEvPT_PKS0_,@function
_Z12geglu_kernelIffLi160ELi5120ELi8ELi2EEvPT_PKS0_: ; @_Z12geglu_kernelIffLi160ELi5120ELi8ELi2EEvPT_PKS0_
; %bb.0:
	s_mov_b64 s[14:15], s[2:3]
	s_mov_b64 s[12:13], s[0:1]
	s_load_dwordx4 s[0:3], s[4:5], 0x0
	s_add_u32 s12, s12, s7
	s_addc_u32 s13, s13, 0
	s_and_b32 s7, s6, 0x7ffffffe
	s_lshl_b32 s4, s6, 1
	s_and_b32 s8, s4, 2
	s_mul_i32 s4, s7, 0x5000
	s_mul_hi_u32 s5, s7, 0x5000
	s_waitcnt lgkmcnt(0)
	s_add_u32 s4, s2, s4
	s_addc_u32 s5, s3, s5
	s_or_b32 s7, s7, 1
	s_mulk_i32 s8, 0xa0
	s_mul_hi_u32 s9, s7, 0x5000
	s_mulk_i32 s7, 0x5000
	v_add_u32_e32 v4, s8, v0
	s_add_u32 s2, s2, s7
	v_lshlrev_b32_e32 v33, 3, v4
	s_addc_u32 s3, s3, s9
	v_lshlrev_b32_e32 v28, 5, v4
	v_add_u32_e32 v4, 0x500, v33
	global_load_dwordx4 v[0:3], v28, s[2:3]
	global_load_dwordx4 v[16:19], v28, s[2:3] offset:16
	v_lshlrev_b32_e32 v32, 2, v4
	global_load_dwordx4 v[20:23], v28, s[4:5] offset:16
	global_load_dwordx4 v[8:11], v28, s[4:5]
	global_load_dwordx4 v[4:7], v32, s[4:5] offset:16
                                        ; implicit-def: $vgpr34
                                        ; kill: killed $vgpr34
	s_waitcnt vmcnt(0)
	buffer_store_dword v4, off, s[12:15], 0 offset:16 ; 4-byte Folded Spill
	s_nop 0
	buffer_store_dword v5, off, s[12:15], 0 offset:20 ; 4-byte Folded Spill
	buffer_store_dword v6, off, s[12:15], 0 offset:24 ; 4-byte Folded Spill
	;; [unrolled: 1-line block ×3, first 2 shown]
	global_load_dwordx4 v[24:27], v32, s[4:5]
	global_load_dwordx4 v[12:15], v32, s[2:3] offset:16
                                        ; kill: killed $vgpr28
                                        ; kill: killed $sgpr4 killed $sgpr5
	global_load_dwordx4 v[28:31], v32, s[2:3]
	v_mul_f32_e32 v34, 0x3f3504f3, v0
	v_cmp_nlt_f32_e64 s[2:3], |v34|, 1.0
	s_and_saveexec_b64 s[4:5], s[2:3]
	s_xor_b64 s[2:3], exec, s[4:5]
	s_cbranch_execz .LBB5_2
; %bb.1:
	s_mov_b32 s4, 0x378e98ab
	v_mov_b32_e32 v35, 0xb9c68948
	v_fma_f32 v35, |v34|, s4, v35
	s_mov_b32 s4, 0x3b7cd369
	v_fma_f32 v35, |v34|, v35, s4
	s_mov_b32 s4, 0xbcc618b2
	;; [unrolled: 2-line block ×5, first 2 shown]
	v_fma_f32 v35, |v34|, v35, s4
	v_fma_f32 v35, |v34|, v35, |v34|
	s_mov_b32 s4, 0xbfb8aa3b
	v_mul_f32_e32 v36, 0xbfb8aa3b, v35
	v_fma_f32 v37, v35, s4, -v36
	v_rndne_f32_e32 v38, v36
	v_fmac_f32_e32 v37, 0xb2a5705f, v35
	v_sub_f32_e32 v36, v36, v38
	v_add_f32_e32 v36, v36, v37
	v_exp_f32_e32 v36, v36
	v_cvt_i32_f32_e32 v37, v38
	s_mov_b32 s4, 0x42ce8ed0
	v_cmp_nlt_f32_e32 vcc, s4, v35
	s_mov_b32 s4, 0xc2b17218
	v_ldexp_f32 v36, v36, v37
	v_cndmask_b32_e32 v36, 0, v36, vcc
	v_mov_b32_e32 v37, 0x7f800000
	v_cmp_ngt_f32_e32 vcc, s4, v35
	v_cndmask_b32_e32 v35, v37, v36, vcc
	v_sub_f32_e32 v35, 1.0, v35
	buffer_store_dword v35, off, s[12:15], 0 ; 4-byte Folded Spill
.LBB5_2:
	s_andn2_saveexec_b64 s[2:3], s[2:3]
	s_cbranch_execz .LBB5_4
; %bb.3:
	v_mul_f32_e32 v35, v34, v34
	v_mov_b32_e32 v36, 0x3ba10414
	v_fmac_f32_e32 v36, 0xba1345e1, v35
	v_mov_b32_e32 v37, 0xbcdac9b8
	v_fmac_f32_e32 v37, v35, v36
	;; [unrolled: 2-line block ×5, first 2 shown]
	v_fma_f32 v35, |v34|, v36, |v34|
	buffer_store_dword v35, off, s[12:15], 0 ; 4-byte Folded Spill
.LBB5_4:
	s_or_b64 exec, exec, s[2:3]
	v_mul_f32_e32 v36, 0x3f3504f3, v1
	v_cmp_nlt_f32_e64 s[2:3], |v36|, 1.0
                                        ; implicit-def: $vgpr35
                                        ; kill: killed $vgpr35
	s_and_saveexec_b64 s[4:5], s[2:3]
	s_xor_b64 s[2:3], exec, s[4:5]
	s_cbranch_execz .LBB5_6
; %bb.5:
	s_mov_b32 s4, 0x378e98ab
	v_mov_b32_e32 v35, 0xb9c68948
	v_fma_f32 v35, |v36|, s4, v35
	s_mov_b32 s4, 0x3b7cd369
	v_fma_f32 v35, |v36|, v35, s4
	s_mov_b32 s4, 0xbcc618b2
	v_fma_f32 v35, |v36|, v35, s4
	s_mov_b32 s4, 0x3dda74e4
	v_fma_f32 v35, |v36|, v35, s4
	s_mov_b32 s4, 0x3f228afd
	v_fma_f32 v35, |v36|, v35, s4
	s_mov_b32 s4, 0x3e03c728
	v_fma_f32 v35, |v36|, v35, s4
	v_fma_f32 v35, |v36|, v35, |v36|
	s_mov_b32 s4, 0xbfb8aa3b
	v_mul_f32_e32 v37, 0xbfb8aa3b, v35
	v_fma_f32 v38, v35, s4, -v37
	v_rndne_f32_e32 v39, v37
	v_fmac_f32_e32 v38, 0xb2a5705f, v35
	v_sub_f32_e32 v37, v37, v39
	v_add_f32_e32 v37, v37, v38
	v_exp_f32_e32 v37, v37
	v_cvt_i32_f32_e32 v38, v39
	s_mov_b32 s4, 0x42ce8ed0
	v_cmp_nlt_f32_e32 vcc, s4, v35
	s_mov_b32 s4, 0xc2b17218
	v_ldexp_f32 v37, v37, v38
	v_cndmask_b32_e32 v37, 0, v37, vcc
	v_mov_b32_e32 v38, 0x7f800000
	v_cmp_ngt_f32_e32 vcc, s4, v35
	v_cndmask_b32_e32 v35, v38, v37, vcc
	v_sub_f32_e32 v35, 1.0, v35
	buffer_store_dword v35, off, s[12:15], 0 offset:4 ; 4-byte Folded Spill
.LBB5_6:
	s_andn2_saveexec_b64 s[2:3], s[2:3]
	s_cbranch_execz .LBB5_8
; %bb.7:
	v_mul_f32_e32 v35, v36, v36
	v_mov_b32_e32 v37, 0x3ba10414
	v_fmac_f32_e32 v37, 0xba1345e1, v35
	v_mov_b32_e32 v38, 0xbcdac9b8
	v_fmac_f32_e32 v38, v35, v37
	v_mov_b32_e32 v37, 0x3de703be
	v_fmac_f32_e32 v37, v35, v38
	v_mov_b32_e32 v38, 0xbec09330
	v_fmac_f32_e32 v38, v35, v37
	v_mov_b32_e32 v37, 0x3e0375d0
	v_fmac_f32_e32 v37, v35, v38
	v_fma_f32 v35, |v36|, v37, |v36|
	buffer_store_dword v35, off, s[12:15], 0 offset:4 ; 4-byte Folded Spill
.LBB5_8:
	s_or_b64 exec, exec, s[2:3]
	v_mul_f32_e32 v38, 0x3f3504f3, v2
	v_cmp_nlt_f32_e64 s[2:3], |v38|, 1.0
                                        ; implicit-def: $vgpr35
                                        ; kill: killed $vgpr35
	s_and_saveexec_b64 s[4:5], s[2:3]
	s_xor_b64 s[2:3], exec, s[4:5]
	s_cbranch_execz .LBB5_10
; %bb.9:
	s_mov_b32 s4, 0x378e98ab
	v_mov_b32_e32 v35, 0xb9c68948
	v_fma_f32 v35, |v38|, s4, v35
	s_mov_b32 s4, 0x3b7cd369
	v_fma_f32 v35, |v38|, v35, s4
	s_mov_b32 s4, 0xbcc618b2
	v_fma_f32 v35, |v38|, v35, s4
	s_mov_b32 s4, 0x3dda74e4
	v_fma_f32 v35, |v38|, v35, s4
	s_mov_b32 s4, 0x3f228afd
	v_fma_f32 v35, |v38|, v35, s4
	s_mov_b32 s4, 0x3e03c728
	v_fma_f32 v35, |v38|, v35, s4
	v_fma_f32 v35, |v38|, v35, |v38|
	s_mov_b32 s4, 0xbfb8aa3b
	v_mul_f32_e32 v37, 0xbfb8aa3b, v35
	v_fma_f32 v39, v35, s4, -v37
	v_rndne_f32_e32 v40, v37
	v_fmac_f32_e32 v39, 0xb2a5705f, v35
	v_sub_f32_e32 v37, v37, v40
	v_add_f32_e32 v37, v37, v39
	v_exp_f32_e32 v37, v37
	v_cvt_i32_f32_e32 v39, v40
	s_mov_b32 s4, 0x42ce8ed0
	v_cmp_nlt_f32_e32 vcc, s4, v35
	s_mov_b32 s4, 0xc2b17218
	v_ldexp_f32 v37, v37, v39
	v_cndmask_b32_e32 v37, 0, v37, vcc
	v_mov_b32_e32 v39, 0x7f800000
	v_cmp_ngt_f32_e32 vcc, s4, v35
	v_cndmask_b32_e32 v35, v39, v37, vcc
	v_sub_f32_e32 v35, 1.0, v35
	buffer_store_dword v35, off, s[12:15], 0 offset:8 ; 4-byte Folded Spill
.LBB5_10:
	s_andn2_saveexec_b64 s[2:3], s[2:3]
	s_cbranch_execz .LBB5_12
; %bb.11:
	v_mul_f32_e32 v35, v38, v38
	v_mov_b32_e32 v37, 0x3ba10414
	v_fmac_f32_e32 v37, 0xba1345e1, v35
	v_mov_b32_e32 v39, 0xbcdac9b8
	v_fmac_f32_e32 v39, v35, v37
	v_mov_b32_e32 v37, 0x3de703be
	v_fmac_f32_e32 v37, v35, v39
	v_mov_b32_e32 v39, 0xbec09330
	v_fmac_f32_e32 v39, v35, v37
	v_mov_b32_e32 v37, 0x3e0375d0
	v_fmac_f32_e32 v37, v35, v39
	v_fma_f32 v35, |v38|, v37, |v38|
	buffer_store_dword v35, off, s[12:15], 0 offset:8 ; 4-byte Folded Spill
.LBB5_12:
	;; [unrolled: 60-line block ×3, first 2 shown]
	s_or_b64 exec, exec, s[2:3]
	v_mul_f32_e32 v42, 0x3f3504f3, v16
	v_cmp_nlt_f32_e64 s[2:3], |v42|, 1.0
                                        ; implicit-def: $vgpr43
	s_and_saveexec_b64 s[4:5], s[2:3]
	s_xor_b64 s[2:3], exec, s[4:5]
	s_cbranch_execz .LBB5_18
; %bb.17:
	s_mov_b32 s4, 0x378e98ab
	v_mov_b32_e32 v35, 0xb9c68948
	v_fma_f32 v35, |v42|, s4, v35
	s_mov_b32 s4, 0x3b7cd369
	v_fma_f32 v35, |v42|, v35, s4
	s_mov_b32 s4, 0xbcc618b2
	v_fma_f32 v35, |v42|, v35, s4
	s_mov_b32 s4, 0x3dda74e4
	v_fma_f32 v35, |v42|, v35, s4
	s_mov_b32 s4, 0x3f228afd
	v_fma_f32 v35, |v42|, v35, s4
	s_mov_b32 s4, 0x3e03c728
	v_fma_f32 v35, |v42|, v35, s4
	v_fma_f32 v35, |v42|, v35, |v42|
	s_mov_b32 s4, 0xbfb8aa3b
	v_mul_f32_e32 v37, 0xbfb8aa3b, v35
	v_fma_f32 v43, v35, s4, -v37
	v_rndne_f32_e32 v44, v37
	v_fmac_f32_e32 v43, 0xb2a5705f, v35
	v_sub_f32_e32 v37, v37, v44
	v_add_f32_e32 v37, v37, v43
	v_exp_f32_e32 v37, v37
	v_cvt_i32_f32_e32 v43, v44
	s_mov_b32 s4, 0x42ce8ed0
	v_cmp_nlt_f32_e32 vcc, s4, v35
	s_mov_b32 s4, 0xc2b17218
	v_ldexp_f32 v37, v37, v43
	v_cndmask_b32_e32 v37, 0, v37, vcc
	v_mov_b32_e32 v43, 0x7f800000
	v_cmp_ngt_f32_e32 vcc, s4, v35
	v_cndmask_b32_e32 v35, v43, v37, vcc
	v_sub_f32_e32 v43, 1.0, v35
.LBB5_18:
	s_andn2_saveexec_b64 s[2:3], s[2:3]
	s_cbranch_execz .LBB5_20
; %bb.19:
	v_mul_f32_e32 v35, v42, v42
	v_mov_b32_e32 v37, 0x3ba10414
	v_fmac_f32_e32 v37, 0xba1345e1, v35
	v_mov_b32_e32 v43, 0xbcdac9b8
	v_fmac_f32_e32 v43, v35, v37
	;; [unrolled: 2-line block ×5, first 2 shown]
	v_fma_f32 v43, |v42|, v37, |v42|
.LBB5_20:
	s_or_b64 exec, exec, s[2:3]
	v_mul_f32_e32 v44, 0x3f3504f3, v17
	v_cmp_nlt_f32_e64 s[2:3], |v44|, 1.0
                                        ; implicit-def: $vgpr45
	s_and_saveexec_b64 s[4:5], s[2:3]
	s_xor_b64 s[2:3], exec, s[4:5]
	s_cbranch_execz .LBB5_22
; %bb.21:
	s_mov_b32 s4, 0x378e98ab
	v_mov_b32_e32 v35, 0xb9c68948
	v_fma_f32 v35, |v44|, s4, v35
	s_mov_b32 s4, 0x3b7cd369
	v_fma_f32 v35, |v44|, v35, s4
	s_mov_b32 s4, 0xbcc618b2
	;; [unrolled: 2-line block ×5, first 2 shown]
	v_fma_f32 v35, |v44|, v35, s4
	v_fma_f32 v35, |v44|, v35, |v44|
	s_mov_b32 s4, 0xbfb8aa3b
	v_mul_f32_e32 v37, 0xbfb8aa3b, v35
	v_fma_f32 v45, v35, s4, -v37
	v_rndne_f32_e32 v46, v37
	v_fmac_f32_e32 v45, 0xb2a5705f, v35
	v_sub_f32_e32 v37, v37, v46
	v_add_f32_e32 v37, v37, v45
	v_exp_f32_e32 v37, v37
	v_cvt_i32_f32_e32 v45, v46
	s_mov_b32 s4, 0x42ce8ed0
	v_cmp_nlt_f32_e32 vcc, s4, v35
	s_mov_b32 s4, 0xc2b17218
	v_ldexp_f32 v37, v37, v45
	v_cndmask_b32_e32 v37, 0, v37, vcc
	v_mov_b32_e32 v45, 0x7f800000
	v_cmp_ngt_f32_e32 vcc, s4, v35
	v_cndmask_b32_e32 v35, v45, v37, vcc
	v_sub_f32_e32 v45, 1.0, v35
.LBB5_22:
	s_andn2_saveexec_b64 s[2:3], s[2:3]
	s_cbranch_execz .LBB5_24
; %bb.23:
	v_mul_f32_e32 v35, v44, v44
	v_mov_b32_e32 v37, 0x3ba10414
	v_fmac_f32_e32 v37, 0xba1345e1, v35
	v_mov_b32_e32 v45, 0xbcdac9b8
	v_fmac_f32_e32 v45, v35, v37
	v_mov_b32_e32 v37, 0x3de703be
	v_fmac_f32_e32 v37, v35, v45
	v_mov_b32_e32 v45, 0xbec09330
	v_fmac_f32_e32 v45, v35, v37
	v_mov_b32_e32 v37, 0x3e0375d0
	v_fmac_f32_e32 v37, v35, v45
	v_fma_f32 v45, |v44|, v37, |v44|
.LBB5_24:
	s_or_b64 exec, exec, s[2:3]
	v_mul_f32_e32 v46, 0x3f3504f3, v18
	v_cmp_nlt_f32_e64 s[2:3], |v46|, 1.0
                                        ; implicit-def: $vgpr47
	s_and_saveexec_b64 s[4:5], s[2:3]
	s_xor_b64 s[2:3], exec, s[4:5]
	s_cbranch_execz .LBB5_26
; %bb.25:
	s_mov_b32 s4, 0x378e98ab
	v_mov_b32_e32 v35, 0xb9c68948
	v_fma_f32 v35, |v46|, s4, v35
	s_mov_b32 s4, 0x3b7cd369
	v_fma_f32 v35, |v46|, v35, s4
	s_mov_b32 s4, 0xbcc618b2
	;; [unrolled: 2-line block ×5, first 2 shown]
	v_fma_f32 v35, |v46|, v35, s4
	v_fma_f32 v35, |v46|, v35, |v46|
	s_mov_b32 s4, 0xbfb8aa3b
	v_mul_f32_e32 v37, 0xbfb8aa3b, v35
	v_fma_f32 v47, v35, s4, -v37
	v_rndne_f32_e32 v48, v37
	v_fmac_f32_e32 v47, 0xb2a5705f, v35
	v_sub_f32_e32 v37, v37, v48
	v_add_f32_e32 v37, v37, v47
	v_exp_f32_e32 v37, v37
	v_cvt_i32_f32_e32 v47, v48
	s_mov_b32 s4, 0x42ce8ed0
	v_cmp_nlt_f32_e32 vcc, s4, v35
	s_mov_b32 s4, 0xc2b17218
	v_ldexp_f32 v37, v37, v47
	v_cndmask_b32_e32 v37, 0, v37, vcc
	v_mov_b32_e32 v47, 0x7f800000
	v_cmp_ngt_f32_e32 vcc, s4, v35
	v_cndmask_b32_e32 v35, v47, v37, vcc
	v_sub_f32_e32 v47, 1.0, v35
.LBB5_26:
	s_andn2_saveexec_b64 s[2:3], s[2:3]
	s_cbranch_execz .LBB5_28
; %bb.27:
	v_mul_f32_e32 v35, v46, v46
	v_mov_b32_e32 v37, 0x3ba10414
	v_fmac_f32_e32 v37, 0xba1345e1, v35
	v_mov_b32_e32 v47, 0xbcdac9b8
	v_fmac_f32_e32 v47, v35, v37
	;; [unrolled: 2-line block ×5, first 2 shown]
	v_fma_f32 v47, |v46|, v37, |v46|
.LBB5_28:
	s_or_b64 exec, exec, s[2:3]
	v_mul_f32_e32 v48, 0x3f3504f3, v19
	v_cmp_nlt_f32_e64 s[2:3], |v48|, 1.0
                                        ; implicit-def: $vgpr49
	s_and_saveexec_b64 s[4:5], s[2:3]
	s_xor_b64 s[2:3], exec, s[4:5]
	s_cbranch_execz .LBB5_30
; %bb.29:
	s_mov_b32 s4, 0x378e98ab
	v_mov_b32_e32 v35, 0xb9c68948
	v_fma_f32 v35, |v48|, s4, v35
	s_mov_b32 s4, 0x3b7cd369
	v_fma_f32 v35, |v48|, v35, s4
	s_mov_b32 s4, 0xbcc618b2
	v_fma_f32 v35, |v48|, v35, s4
	s_mov_b32 s4, 0x3dda74e4
	v_fma_f32 v35, |v48|, v35, s4
	s_mov_b32 s4, 0x3f228afd
	v_fma_f32 v35, |v48|, v35, s4
	s_mov_b32 s4, 0x3e03c728
	v_fma_f32 v35, |v48|, v35, s4
	v_fma_f32 v35, |v48|, v35, |v48|
	s_mov_b32 s4, 0xbfb8aa3b
	v_mul_f32_e32 v37, 0xbfb8aa3b, v35
	v_fma_f32 v49, v35, s4, -v37
	v_rndne_f32_e32 v50, v37
	v_fmac_f32_e32 v49, 0xb2a5705f, v35
	v_sub_f32_e32 v37, v37, v50
	v_add_f32_e32 v37, v37, v49
	v_exp_f32_e32 v37, v37
	v_cvt_i32_f32_e32 v49, v50
	s_mov_b32 s4, 0x42ce8ed0
	v_cmp_nlt_f32_e32 vcc, s4, v35
	s_mov_b32 s4, 0xc2b17218
	v_ldexp_f32 v37, v37, v49
	v_cndmask_b32_e32 v37, 0, v37, vcc
	v_mov_b32_e32 v49, 0x7f800000
	v_cmp_ngt_f32_e32 vcc, s4, v35
	v_cndmask_b32_e32 v35, v49, v37, vcc
	v_sub_f32_e32 v49, 1.0, v35
.LBB5_30:
	s_andn2_saveexec_b64 s[2:3], s[2:3]
	s_cbranch_execz .LBB5_32
; %bb.31:
	v_mul_f32_e32 v35, v48, v48
	v_mov_b32_e32 v37, 0x3ba10414
	v_fmac_f32_e32 v37, 0xba1345e1, v35
	v_mov_b32_e32 v49, 0xbcdac9b8
	v_fmac_f32_e32 v49, v35, v37
	;; [unrolled: 2-line block ×5, first 2 shown]
	v_fma_f32 v49, |v48|, v37, |v48|
.LBB5_32:
	s_or_b64 exec, exec, s[2:3]
	s_waitcnt vmcnt(0)
	v_mul_f32_e32 v50, 0x3f3504f3, v28
	v_cmp_nlt_f32_e64 s[2:3], |v50|, 1.0
                                        ; implicit-def: $vgpr51
	s_and_saveexec_b64 s[4:5], s[2:3]
	s_xor_b64 s[2:3], exec, s[4:5]
	s_cbranch_execz .LBB5_34
; %bb.33:
	s_mov_b32 s4, 0x378e98ab
	v_mov_b32_e32 v35, 0xb9c68948
	v_fma_f32 v35, |v50|, s4, v35
	s_mov_b32 s4, 0x3b7cd369
	v_fma_f32 v35, |v50|, v35, s4
	s_mov_b32 s4, 0xbcc618b2
	;; [unrolled: 2-line block ×5, first 2 shown]
	v_fma_f32 v35, |v50|, v35, s4
	v_fma_f32 v35, |v50|, v35, |v50|
	s_mov_b32 s4, 0xbfb8aa3b
	v_mul_f32_e32 v37, 0xbfb8aa3b, v35
	v_fma_f32 v51, v35, s4, -v37
	v_rndne_f32_e32 v52, v37
	v_fmac_f32_e32 v51, 0xb2a5705f, v35
	v_sub_f32_e32 v37, v37, v52
	v_add_f32_e32 v37, v37, v51
	v_exp_f32_e32 v37, v37
	v_cvt_i32_f32_e32 v51, v52
	s_mov_b32 s4, 0x42ce8ed0
	v_cmp_nlt_f32_e32 vcc, s4, v35
	s_mov_b32 s4, 0xc2b17218
	v_ldexp_f32 v37, v37, v51
	v_cndmask_b32_e32 v37, 0, v37, vcc
	v_mov_b32_e32 v51, 0x7f800000
	v_cmp_ngt_f32_e32 vcc, s4, v35
	v_cndmask_b32_e32 v35, v51, v37, vcc
	v_sub_f32_e32 v51, 1.0, v35
.LBB5_34:
	s_andn2_saveexec_b64 s[2:3], s[2:3]
	s_cbranch_execz .LBB5_36
; %bb.35:
	v_mul_f32_e32 v35, v50, v50
	v_mov_b32_e32 v37, 0x3ba10414
	v_fmac_f32_e32 v37, 0xba1345e1, v35
	v_mov_b32_e32 v51, 0xbcdac9b8
	v_fmac_f32_e32 v51, v35, v37
	;; [unrolled: 2-line block ×5, first 2 shown]
	v_fma_f32 v51, |v50|, v37, |v50|
.LBB5_36:
	s_or_b64 exec, exec, s[2:3]
	v_mul_f32_e32 v52, 0x3f3504f3, v29
	v_cmp_nlt_f32_e64 s[2:3], |v52|, 1.0
                                        ; implicit-def: $vgpr53
	s_and_saveexec_b64 s[4:5], s[2:3]
	s_xor_b64 s[2:3], exec, s[4:5]
	s_cbranch_execz .LBB5_38
; %bb.37:
	s_mov_b32 s4, 0x378e98ab
	v_mov_b32_e32 v35, 0xb9c68948
	v_fma_f32 v35, |v52|, s4, v35
	s_mov_b32 s4, 0x3b7cd369
	v_fma_f32 v35, |v52|, v35, s4
	s_mov_b32 s4, 0xbcc618b2
	;; [unrolled: 2-line block ×5, first 2 shown]
	v_fma_f32 v35, |v52|, v35, s4
	v_fma_f32 v35, |v52|, v35, |v52|
	s_mov_b32 s4, 0xbfb8aa3b
	v_mul_f32_e32 v37, 0xbfb8aa3b, v35
	v_fma_f32 v53, v35, s4, -v37
	v_rndne_f32_e32 v54, v37
	v_fmac_f32_e32 v53, 0xb2a5705f, v35
	v_sub_f32_e32 v37, v37, v54
	v_add_f32_e32 v37, v37, v53
	v_exp_f32_e32 v37, v37
	v_cvt_i32_f32_e32 v53, v54
	s_mov_b32 s4, 0x42ce8ed0
	v_cmp_nlt_f32_e32 vcc, s4, v35
	s_mov_b32 s4, 0xc2b17218
	v_ldexp_f32 v37, v37, v53
	v_cndmask_b32_e32 v37, 0, v37, vcc
	v_mov_b32_e32 v53, 0x7f800000
	v_cmp_ngt_f32_e32 vcc, s4, v35
	v_cndmask_b32_e32 v35, v53, v37, vcc
	v_sub_f32_e32 v53, 1.0, v35
.LBB5_38:
	s_andn2_saveexec_b64 s[2:3], s[2:3]
	s_cbranch_execz .LBB5_40
; %bb.39:
	v_mul_f32_e32 v35, v52, v52
	v_mov_b32_e32 v37, 0x3ba10414
	v_fmac_f32_e32 v37, 0xba1345e1, v35
	v_mov_b32_e32 v53, 0xbcdac9b8
	v_fmac_f32_e32 v53, v35, v37
	;; [unrolled: 2-line block ×5, first 2 shown]
	v_fma_f32 v53, |v52|, v37, |v52|
.LBB5_40:
	s_or_b64 exec, exec, s[2:3]
	v_mul_f32_e32 v54, 0x3f3504f3, v30
	v_cmp_nlt_f32_e64 s[2:3], |v54|, 1.0
                                        ; implicit-def: $vgpr55
	s_and_saveexec_b64 s[4:5], s[2:3]
	s_xor_b64 s[2:3], exec, s[4:5]
	s_cbranch_execz .LBB5_42
; %bb.41:
	s_mov_b32 s4, 0x378e98ab
	v_mov_b32_e32 v35, 0xb9c68948
	v_fma_f32 v35, |v54|, s4, v35
	s_mov_b32 s4, 0x3b7cd369
	v_fma_f32 v35, |v54|, v35, s4
	s_mov_b32 s4, 0xbcc618b2
	;; [unrolled: 2-line block ×5, first 2 shown]
	v_fma_f32 v35, |v54|, v35, s4
	v_fma_f32 v35, |v54|, v35, |v54|
	s_mov_b32 s4, 0xbfb8aa3b
	v_mul_f32_e32 v37, 0xbfb8aa3b, v35
	v_fma_f32 v55, v35, s4, -v37
	v_rndne_f32_e32 v56, v37
	v_fmac_f32_e32 v55, 0xb2a5705f, v35
	v_sub_f32_e32 v37, v37, v56
	v_add_f32_e32 v37, v37, v55
	v_exp_f32_e32 v37, v37
	v_cvt_i32_f32_e32 v55, v56
	s_mov_b32 s4, 0x42ce8ed0
	v_cmp_nlt_f32_e32 vcc, s4, v35
	s_mov_b32 s4, 0xc2b17218
	v_ldexp_f32 v37, v37, v55
	v_cndmask_b32_e32 v37, 0, v37, vcc
	v_mov_b32_e32 v55, 0x7f800000
	v_cmp_ngt_f32_e32 vcc, s4, v35
	v_cndmask_b32_e32 v35, v55, v37, vcc
	v_sub_f32_e32 v55, 1.0, v35
.LBB5_42:
	s_andn2_saveexec_b64 s[2:3], s[2:3]
	s_cbranch_execz .LBB5_44
; %bb.43:
	v_mul_f32_e32 v35, v54, v54
	v_mov_b32_e32 v37, 0x3ba10414
	v_fmac_f32_e32 v37, 0xba1345e1, v35
	v_mov_b32_e32 v55, 0xbcdac9b8
	v_fmac_f32_e32 v55, v35, v37
	;; [unrolled: 2-line block ×5, first 2 shown]
	v_fma_f32 v55, |v54|, v37, |v54|
.LBB5_44:
	s_or_b64 exec, exec, s[2:3]
	v_mul_f32_e32 v56, 0x3f3504f3, v31
	v_cmp_nlt_f32_e64 s[2:3], |v56|, 1.0
                                        ; implicit-def: $vgpr57
	s_and_saveexec_b64 s[4:5], s[2:3]
	s_xor_b64 s[2:3], exec, s[4:5]
	s_cbranch_execz .LBB5_46
; %bb.45:
	s_mov_b32 s4, 0x378e98ab
	v_mov_b32_e32 v35, 0xb9c68948
	v_fma_f32 v35, |v56|, s4, v35
	s_mov_b32 s4, 0x3b7cd369
	v_fma_f32 v35, |v56|, v35, s4
	s_mov_b32 s4, 0xbcc618b2
	;; [unrolled: 2-line block ×5, first 2 shown]
	v_fma_f32 v35, |v56|, v35, s4
	v_fma_f32 v35, |v56|, v35, |v56|
	s_mov_b32 s4, 0xbfb8aa3b
	v_mul_f32_e32 v37, 0xbfb8aa3b, v35
	v_fma_f32 v57, v35, s4, -v37
	v_rndne_f32_e32 v58, v37
	v_fmac_f32_e32 v57, 0xb2a5705f, v35
	v_sub_f32_e32 v37, v37, v58
	v_add_f32_e32 v37, v37, v57
	v_exp_f32_e32 v37, v37
	v_cvt_i32_f32_e32 v57, v58
	s_mov_b32 s4, 0x42ce8ed0
	v_cmp_nlt_f32_e32 vcc, s4, v35
	s_mov_b32 s4, 0xc2b17218
	v_ldexp_f32 v37, v37, v57
	v_cndmask_b32_e32 v37, 0, v37, vcc
	v_mov_b32_e32 v57, 0x7f800000
	v_cmp_ngt_f32_e32 vcc, s4, v35
	v_cndmask_b32_e32 v35, v57, v37, vcc
	v_sub_f32_e32 v57, 1.0, v35
.LBB5_46:
	s_andn2_saveexec_b64 s[2:3], s[2:3]
	s_cbranch_execz .LBB5_48
; %bb.47:
	v_mul_f32_e32 v35, v56, v56
	v_mov_b32_e32 v37, 0x3ba10414
	v_fmac_f32_e32 v37, 0xba1345e1, v35
	v_mov_b32_e32 v57, 0xbcdac9b8
	v_fmac_f32_e32 v57, v35, v37
	;; [unrolled: 2-line block ×5, first 2 shown]
	v_fma_f32 v57, |v56|, v37, |v56|
.LBB5_48:
	s_or_b64 exec, exec, s[2:3]
	v_mul_f32_e32 v58, 0x3f3504f3, v12
	v_cmp_nlt_f32_e64 s[2:3], |v58|, 1.0
                                        ; implicit-def: $vgpr59
	s_and_saveexec_b64 s[4:5], s[2:3]
	s_xor_b64 s[2:3], exec, s[4:5]
	s_cbranch_execz .LBB5_50
; %bb.49:
	s_mov_b32 s4, 0x378e98ab
	v_mov_b32_e32 v35, 0xb9c68948
	v_fma_f32 v35, |v58|, s4, v35
	s_mov_b32 s4, 0x3b7cd369
	v_fma_f32 v35, |v58|, v35, s4
	s_mov_b32 s4, 0xbcc618b2
	;; [unrolled: 2-line block ×5, first 2 shown]
	v_fma_f32 v35, |v58|, v35, s4
	v_fma_f32 v35, |v58|, v35, |v58|
	s_mov_b32 s4, 0xbfb8aa3b
	v_mul_f32_e32 v37, 0xbfb8aa3b, v35
	v_fma_f32 v59, v35, s4, -v37
	v_rndne_f32_e32 v60, v37
	v_fmac_f32_e32 v59, 0xb2a5705f, v35
	v_sub_f32_e32 v37, v37, v60
	v_add_f32_e32 v37, v37, v59
	v_exp_f32_e32 v37, v37
	v_cvt_i32_f32_e32 v59, v60
	s_mov_b32 s4, 0x42ce8ed0
	v_cmp_nlt_f32_e32 vcc, s4, v35
	s_mov_b32 s4, 0xc2b17218
	v_ldexp_f32 v37, v37, v59
	v_cndmask_b32_e32 v37, 0, v37, vcc
	v_mov_b32_e32 v59, 0x7f800000
	v_cmp_ngt_f32_e32 vcc, s4, v35
	v_cndmask_b32_e32 v35, v59, v37, vcc
	v_sub_f32_e32 v59, 1.0, v35
.LBB5_50:
	s_andn2_saveexec_b64 s[2:3], s[2:3]
	s_cbranch_execz .LBB5_52
; %bb.51:
	v_mul_f32_e32 v35, v58, v58
	v_mov_b32_e32 v37, 0x3ba10414
	v_fmac_f32_e32 v37, 0xba1345e1, v35
	v_mov_b32_e32 v59, 0xbcdac9b8
	v_fmac_f32_e32 v59, v35, v37
	;; [unrolled: 2-line block ×5, first 2 shown]
	v_fma_f32 v59, |v58|, v37, |v58|
.LBB5_52:
	s_or_b64 exec, exec, s[2:3]
	v_mul_f32_e32 v60, 0x3f3504f3, v13
	v_cmp_nlt_f32_e64 s[2:3], |v60|, 1.0
                                        ; implicit-def: $vgpr62
	s_and_saveexec_b64 s[4:5], s[2:3]
	s_xor_b64 s[2:3], exec, s[4:5]
	s_cbranch_execz .LBB5_54
; %bb.53:
	s_mov_b32 s4, 0x378e98ab
	v_mov_b32_e32 v35, 0xb9c68948
	v_fma_f32 v35, |v60|, s4, v35
	s_mov_b32 s4, 0x3b7cd369
	v_fma_f32 v35, |v60|, v35, s4
	s_mov_b32 s4, 0xbcc618b2
	v_fma_f32 v35, |v60|, v35, s4
	s_mov_b32 s4, 0x3dda74e4
	v_fma_f32 v35, |v60|, v35, s4
	s_mov_b32 s4, 0x3f228afd
	v_fma_f32 v35, |v60|, v35, s4
	s_mov_b32 s4, 0x3e03c728
	v_fma_f32 v35, |v60|, v35, s4
	v_fma_f32 v35, |v60|, v35, |v60|
	s_mov_b32 s4, 0xbfb8aa3b
	v_mul_f32_e32 v37, 0xbfb8aa3b, v35
	v_fma_f32 v61, v35, s4, -v37
	v_rndne_f32_e32 v62, v37
	v_fmac_f32_e32 v61, 0xb2a5705f, v35
	v_sub_f32_e32 v37, v37, v62
	v_add_f32_e32 v37, v37, v61
	v_exp_f32_e32 v37, v37
	v_cvt_i32_f32_e32 v61, v62
	s_mov_b32 s4, 0x42ce8ed0
	v_cmp_nlt_f32_e32 vcc, s4, v35
	s_mov_b32 s4, 0xc2b17218
	v_ldexp_f32 v37, v37, v61
	v_cndmask_b32_e32 v37, 0, v37, vcc
	v_mov_b32_e32 v61, 0x7f800000
	v_cmp_ngt_f32_e32 vcc, s4, v35
	v_cndmask_b32_e32 v35, v61, v37, vcc
	v_sub_f32_e32 v62, 1.0, v35
.LBB5_54:
	s_andn2_saveexec_b64 s[2:3], s[2:3]
	s_cbranch_execz .LBB5_56
; %bb.55:
	v_mul_f32_e32 v35, v60, v60
	v_mov_b32_e32 v37, 0x3ba10414
	v_fmac_f32_e32 v37, 0xba1345e1, v35
	v_mov_b32_e32 v61, 0xbcdac9b8
	v_fmac_f32_e32 v61, v35, v37
	;; [unrolled: 2-line block ×5, first 2 shown]
	v_fma_f32 v62, |v60|, v37, |v60|
.LBB5_56:
	s_or_b64 exec, exec, s[2:3]
	v_mul_f32_e32 v63, 0x3f3504f3, v14
	v_cmp_nlt_f32_e64 s[2:3], |v63|, 1.0
                                        ; implicit-def: $vgpr37
	s_and_saveexec_b64 s[4:5], s[2:3]
	s_xor_b64 s[2:3], exec, s[4:5]
	s_cbranch_execz .LBB5_58
; %bb.57:
	s_mov_b32 s4, 0x378e98ab
	v_mov_b32_e32 v35, 0xb9c68948
	v_fma_f32 v35, |v63|, s4, v35
	s_mov_b32 s4, 0x3b7cd369
	v_fma_f32 v35, |v63|, v35, s4
	s_mov_b32 s4, 0xbcc618b2
	;; [unrolled: 2-line block ×5, first 2 shown]
	v_fma_f32 v35, |v63|, v35, s4
	v_fma_f32 v35, |v63|, v35, |v63|
	s_mov_b32 s4, 0xbfb8aa3b
	v_mul_f32_e32 v37, 0xbfb8aa3b, v35
	v_fma_f32 v61, v35, s4, -v37
	v_rndne_f32_e32 v39, v37
	v_fmac_f32_e32 v61, 0xb2a5705f, v35
	v_sub_f32_e32 v37, v37, v39
	v_add_f32_e32 v37, v37, v61
	v_exp_f32_e32 v37, v37
	v_cvt_i32_f32_e32 v39, v39
	s_mov_b32 s4, 0x42ce8ed0
	v_cmp_nlt_f32_e32 vcc, s4, v35
	s_mov_b32 s4, 0xc2b17218
	v_ldexp_f32 v37, v37, v39
	v_cndmask_b32_e32 v37, 0, v37, vcc
	v_mov_b32_e32 v39, 0x7f800000
	v_cmp_ngt_f32_e32 vcc, s4, v35
	v_cndmask_b32_e32 v35, v39, v37, vcc
	v_sub_f32_e32 v37, 1.0, v35
.LBB5_58:
	s_andn2_saveexec_b64 s[2:3], s[2:3]
	s_cbranch_execz .LBB5_60
; %bb.59:
	v_mul_f32_e32 v35, v63, v63
	v_mov_b32_e32 v37, 0x3ba10414
	v_fmac_f32_e32 v37, 0xba1345e1, v35
	v_mov_b32_e32 v39, 0xbcdac9b8
	v_fmac_f32_e32 v39, v35, v37
	;; [unrolled: 2-line block ×5, first 2 shown]
	v_fma_f32 v37, |v63|, v37, |v63|
.LBB5_60:
	s_or_b64 exec, exec, s[2:3]
	v_mul_f32_e32 v61, 0x3f3504f3, v15
	v_cmp_nlt_f32_e64 s[2:3], |v61|, 1.0
                                        ; implicit-def: $vgpr35
	s_and_saveexec_b64 s[4:5], s[2:3]
	s_xor_b64 s[2:3], exec, s[4:5]
	s_cbranch_execz .LBB5_62
; %bb.61:
	s_mov_b32 s4, 0x378e98ab
	v_mov_b32_e32 v35, 0xb9c68948
	v_fma_f32 v35, |v61|, s4, v35
	s_mov_b32 s4, 0x3b7cd369
	v_fma_f32 v35, |v61|, v35, s4
	s_mov_b32 s4, 0xbcc618b2
	;; [unrolled: 2-line block ×5, first 2 shown]
	v_fma_f32 v35, |v61|, v35, s4
	v_fma_f32 v35, |v61|, v35, |v61|
	s_mov_b32 s4, 0xbfb8aa3b
	v_mul_f32_e32 v39, 0xbfb8aa3b, v35
	v_fma_f32 v41, v35, s4, -v39
	v_mov_b32_e32 v4, v53
	v_mov_b32_e32 v53, v51
	v_mov_b32_e32 v51, v49
	v_mov_b32_e32 v49, v47
	v_mov_b32_e32 v47, v45
	v_mov_b32_e32 v45, v33
	v_mov_b32_e32 v33, v43
	v_rndne_f32_e32 v43, v39
	v_fmac_f32_e32 v41, 0xb2a5705f, v35
	v_sub_f32_e32 v39, v39, v43
	v_add_f32_e32 v39, v39, v41
	v_exp_f32_e32 v39, v39
	v_cvt_i32_f32_e32 v41, v43
	s_mov_b32 s4, 0x42ce8ed0
	v_cmp_nlt_f32_e32 vcc, s4, v35
	s_mov_b32 s4, 0xc2b17218
	v_ldexp_f32 v39, v39, v41
	v_cndmask_b32_e32 v39, 0, v39, vcc
	v_mov_b32_e32 v41, 0x7f800000
	v_cmp_ngt_f32_e32 vcc, s4, v35
	v_cndmask_b32_e32 v35, v41, v39, vcc
	v_mov_b32_e32 v43, v33
	v_mov_b32_e32 v33, v45
	;; [unrolled: 1-line block ×7, first 2 shown]
	v_sub_f32_e32 v35, 1.0, v35
.LBB5_62:
	s_andn2_saveexec_b64 s[2:3], s[2:3]
	s_cbranch_execz .LBB5_64
; %bb.63:
	v_mul_f32_e32 v35, v61, v61
	v_mov_b32_e32 v39, 0x3ba10414
	v_fmac_f32_e32 v39, 0xba1345e1, v35
	v_mov_b32_e32 v41, 0xbcdac9b8
	v_fmac_f32_e32 v41, v35, v39
	;; [unrolled: 2-line block ×5, first 2 shown]
	v_fma_f32 v35, |v61|, v39, |v61|
.LBB5_64:
	s_or_b64 exec, exec, s[2:3]
	buffer_load_dword v4, off, s[12:15], 0 offset:16 ; 4-byte Folded Reload
	buffer_load_dword v5, off, s[12:15], 0 offset:20 ; 4-byte Folded Reload
	;; [unrolled: 1-line block ×4, first 2 shown]
	s_brev_b32 s2, -2
	v_bfi_b32 v37, s2, v37, v63
	v_add_f32_e32 v37, 1.0, v37
	v_mul_f32_e32 v14, 0.5, v14
	v_mul_f32_e32 v14, v14, v37
	v_bfi_b32 v37, s2, v62, v60
	v_add_f32_e32 v37, 1.0, v37
	v_mul_f32_e32 v13, 0.5, v13
	v_mul_f32_e32 v13, v13, v37
	v_mul_f32_e32 v12, 0.5, v12
	v_mul_f32_e32 v31, 0.5, v31
	;; [unrolled: 1-line block ×9, first 2 shown]
	s_waitcnt vmcnt(2)
	v_mul_f32_e32 v5, v5, v13
	v_bfi_b32 v13, s2, v59, v58
	v_add_f32_e32 v13, 1.0, v13
	v_mul_f32_e32 v12, v12, v13
	v_mul_f32_e32 v4, v4, v12
	v_bfi_b32 v12, s2, v57, v56
	v_add_f32_e32 v12, 1.0, v12
	v_mul_f32_e32 v12, v31, v12
	v_mul_f32_e32 v27, v27, v12
	v_bfi_b32 v12, s2, v53, v52
	v_add_f32_e32 v12, 1.0, v12
	v_bfi_b32 v13, s2, v55, v54
	v_mul_f32_e32 v12, v29, v12
	v_add_f32_e32 v13, 1.0, v13
	v_mul_f32_e32 v25, v25, v12
	v_bfi_b32 v12, s2, v51, v50
	v_mul_f32_e32 v13, v30, v13
	v_add_f32_e32 v12, 1.0, v12
	v_mul_f32_e32 v26, v26, v13
	v_mul_f32_e32 v12, v28, v12
	v_bfi_b32 v13, s2, v49, v48
	v_mul_f32_e32 v24, v24, v12
	v_mul_f32_e32 v12, 0.5, v19
	v_add_f32_e32 v13, 1.0, v13
	v_mul_f32_e32 v12, v12, v13
	v_bfi_b32 v13, s2, v47, v46
	v_mul_f32_e32 v19, v23, v12
	v_mul_f32_e32 v12, 0.5, v18
	v_add_f32_e32 v13, 1.0, v13
	;; [unrolled: 5-line block ×4, first 2 shown]
	v_mul_f32_e32 v12, v12, v13
	v_mul_f32_e32 v16, v20, v12
	buffer_load_dword v12, off, s[12:15], 0 offset:12 ; 4-byte Folded Reload
	s_waitcnt vmcnt(2)
	v_mul_f32_e32 v6, v6, v14
	s_waitcnt vmcnt(0)
	v_bfi_b32 v12, s2, v12, v40
	v_add_f32_e32 v12, 1.0, v12
	v_mul_f32_e32 v3, v3, v12
	v_mul_f32_e32 v3, v11, v3
	buffer_load_dword v11, off, s[12:15], 0 offset:8 ; 4-byte Folded Reload
	s_waitcnt vmcnt(0)
	v_bfi_b32 v11, s2, v11, v38
	v_add_f32_e32 v11, 1.0, v11
	v_mul_f32_e32 v2, v2, v11
	v_mul_f32_e32 v2, v10, v2
	buffer_load_dword v10, off, s[12:15], 0 offset:4 ; 4-byte Folded Reload
	s_waitcnt vmcnt(0)
	v_bfi_b32 v10, s2, v10, v36
	v_add_f32_e32 v10, 1.0, v10
	v_mul_f32_e32 v1, v1, v10
	v_mul_f32_e32 v1, v9, v1
	buffer_load_dword v9, off, s[12:15], 0  ; 4-byte Folded Reload
	s_waitcnt vmcnt(0)
	v_bfi_b32 v9, s2, v9, v34
	v_add_f32_e32 v9, 1.0, v9
	v_mul_f32_e32 v0, v0, v9
	v_bfi_b32 v9, s2, v35, v61
	s_bfe_u32 s2, s6, 0x1e0001
	v_mul_f32_e32 v0, v8, v0
	v_mul_f32_e32 v8, 0.5, v15
	v_add_f32_e32 v9, 1.0, v9
	s_mul_hi_u32 s3, s2, 0x5000
	s_mulk_i32 s2, 0x5000
	v_mul_f32_e32 v8, v8, v9
	s_add_u32 s0, s0, s2
	v_mul_f32_e32 v7, v7, v8
	s_addc_u32 s1, s1, s3
	v_lshlrev_b32_e32 v8, 2, v33
	global_store_dwordx4 v8, v[0:3], s[0:1]
	global_store_dwordx4 v8, v[16:19], s[0:1] offset:16
	global_store_dwordx4 v32, v[24:27], s[0:1]
	global_store_dwordx4 v32, v[4:7], s[0:1] offset:16
	s_endpgm
	.section	.rodata,"a",@progbits
	.p2align	6, 0x0
	.amdhsa_kernel _Z12geglu_kernelIffLi160ELi5120ELi8ELi2EEvPT_PKS0_
		.amdhsa_group_segment_fixed_size 0
		.amdhsa_private_segment_fixed_size 36
		.amdhsa_kernarg_size 16
		.amdhsa_user_sgpr_count 6
		.amdhsa_user_sgpr_private_segment_buffer 1
		.amdhsa_user_sgpr_dispatch_ptr 0
		.amdhsa_user_sgpr_queue_ptr 0
		.amdhsa_user_sgpr_kernarg_segment_ptr 1
		.amdhsa_user_sgpr_dispatch_id 0
		.amdhsa_user_sgpr_flat_scratch_init 0
		.amdhsa_user_sgpr_private_segment_size 0
		.amdhsa_uses_dynamic_stack 0
		.amdhsa_system_sgpr_private_segment_wavefront_offset 1
		.amdhsa_system_sgpr_workgroup_id_x 1
		.amdhsa_system_sgpr_workgroup_id_y 0
		.amdhsa_system_sgpr_workgroup_id_z 0
		.amdhsa_system_sgpr_workgroup_info 0
		.amdhsa_system_vgpr_workitem_id 0
		.amdhsa_next_free_vgpr 64
		.amdhsa_next_free_sgpr 16
		.amdhsa_reserve_vcc 1
		.amdhsa_reserve_flat_scratch 0
		.amdhsa_float_round_mode_32 0
		.amdhsa_float_round_mode_16_64 0
		.amdhsa_float_denorm_mode_32 3
		.amdhsa_float_denorm_mode_16_64 3
		.amdhsa_dx10_clamp 1
		.amdhsa_ieee_mode 1
		.amdhsa_fp16_overflow 0
		.amdhsa_exception_fp_ieee_invalid_op 0
		.amdhsa_exception_fp_denorm_src 0
		.amdhsa_exception_fp_ieee_div_zero 0
		.amdhsa_exception_fp_ieee_overflow 0
		.amdhsa_exception_fp_ieee_underflow 0
		.amdhsa_exception_fp_ieee_inexact 0
		.amdhsa_exception_int_div_zero 0
	.end_amdhsa_kernel
	.section	.text._Z12geglu_kernelIffLi160ELi5120ELi8ELi2EEvPT_PKS0_,"axG",@progbits,_Z12geglu_kernelIffLi160ELi5120ELi8ELi2EEvPT_PKS0_,comdat
.Lfunc_end5:
	.size	_Z12geglu_kernelIffLi160ELi5120ELi8ELi2EEvPT_PKS0_, .Lfunc_end5-_Z12geglu_kernelIffLi160ELi5120ELi8ELi2EEvPT_PKS0_
                                        ; -- End function
	.set _Z12geglu_kernelIffLi160ELi5120ELi8ELi2EEvPT_PKS0_.num_vgpr, 64
	.set _Z12geglu_kernelIffLi160ELi5120ELi8ELi2EEvPT_PKS0_.num_agpr, 0
	.set _Z12geglu_kernelIffLi160ELi5120ELi8ELi2EEvPT_PKS0_.numbered_sgpr, 16
	.set _Z12geglu_kernelIffLi160ELi5120ELi8ELi2EEvPT_PKS0_.num_named_barrier, 0
	.set _Z12geglu_kernelIffLi160ELi5120ELi8ELi2EEvPT_PKS0_.private_seg_size, 36
	.set _Z12geglu_kernelIffLi160ELi5120ELi8ELi2EEvPT_PKS0_.uses_vcc, 1
	.set _Z12geglu_kernelIffLi160ELi5120ELi8ELi2EEvPT_PKS0_.uses_flat_scratch, 0
	.set _Z12geglu_kernelIffLi160ELi5120ELi8ELi2EEvPT_PKS0_.has_dyn_sized_stack, 0
	.set _Z12geglu_kernelIffLi160ELi5120ELi8ELi2EEvPT_PKS0_.has_recursion, 0
	.set _Z12geglu_kernelIffLi160ELi5120ELi8ELi2EEvPT_PKS0_.has_indirect_call, 0
	.section	.AMDGPU.csdata,"",@progbits
; Kernel info:
; codeLenInByte = 6204
; TotalNumSgprs: 20
; NumVgprs: 64
; ScratchSize: 36
; MemoryBound: 0
; FloatMode: 240
; IeeeMode: 1
; LDSByteSize: 0 bytes/workgroup (compile time only)
; SGPRBlocks: 2
; VGPRBlocks: 15
; NumSGPRsForWavesPerEU: 20
; NumVGPRsForWavesPerEU: 64
; Occupancy: 4
; WaveLimiterHint : 0
; COMPUTE_PGM_RSRC2:SCRATCH_EN: 1
; COMPUTE_PGM_RSRC2:USER_SGPR: 6
; COMPUTE_PGM_RSRC2:TRAP_HANDLER: 0
; COMPUTE_PGM_RSRC2:TGID_X_EN: 1
; COMPUTE_PGM_RSRC2:TGID_Y_EN: 0
; COMPUTE_PGM_RSRC2:TGID_Z_EN: 0
; COMPUTE_PGM_RSRC2:TIDIG_COMP_CNT: 0
	.section	.AMDGPU.gpr_maximums,"",@progbits
	.set amdgpu.max_num_vgpr, 0
	.set amdgpu.max_num_agpr, 0
	.set amdgpu.max_num_sgpr, 0
	.section	.AMDGPU.csdata,"",@progbits
	.type	__hip_cuid_b4aecfe39b0528c3,@object ; @__hip_cuid_b4aecfe39b0528c3
	.section	.bss,"aw",@nobits
	.globl	__hip_cuid_b4aecfe39b0528c3
__hip_cuid_b4aecfe39b0528c3:
	.byte	0                               ; 0x0
	.size	__hip_cuid_b4aecfe39b0528c3, 1

	.ident	"AMD clang version 22.0.0git (https://github.com/RadeonOpenCompute/llvm-project roc-7.2.4 26084 f58b06dce1f9c15707c5f808fd002e18c2accf7e)"
	.section	".note.GNU-stack","",@progbits
	.addrsig
	.addrsig_sym __hip_cuid_b4aecfe39b0528c3
	.amdgpu_metadata
---
amdhsa.kernels:
  - .args:
      - .address_space:  global
        .offset:         0
        .size:           8
        .value_kind:     global_buffer
      - .address_space:  global
        .offset:         8
        .size:           8
        .value_kind:     global_buffer
    .group_segment_fixed_size: 0
    .kernarg_segment_align: 8
    .kernarg_segment_size: 16
    .language:       OpenCL C
    .language_version:
      - 2
      - 0
    .max_flat_workgroup_size: 1024
    .name:           _Z12geglu_kernelIffLi160ELi1280ELi8ELi1EEvPT_PKS0_
    .private_segment_fixed_size: 0
    .sgpr_count:     13
    .sgpr_spill_count: 0
    .symbol:         _Z12geglu_kernelIffLi160ELi1280ELi8ELi1EEvPT_PKS0_.kd
    .uniform_work_group_size: 1
    .uses_dynamic_stack: false
    .vgpr_count:     36
    .vgpr_spill_count: 0
    .wavefront_size: 64
  - .args:
      - .address_space:  global
        .offset:         0
        .size:           8
        .value_kind:     global_buffer
      - .address_space:  global
        .offset:         8
        .size:           8
        .value_kind:     global_buffer
    .group_segment_fixed_size: 0
    .kernarg_segment_align: 8
    .kernarg_segment_size: 16
    .language:       OpenCL C
    .language_version:
      - 2
      - 0
    .max_flat_workgroup_size: 1024
    .name:           _Z12geglu_kernelIffLi160ELi2560ELi8ELi1EEvPT_PKS0_
    .private_segment_fixed_size: 0
    .sgpr_count:     13
    .sgpr_spill_count: 0
    .symbol:         _Z12geglu_kernelIffLi160ELi2560ELi8ELi1EEvPT_PKS0_.kd
    .uniform_work_group_size: 1
    .uses_dynamic_stack: false
    .vgpr_count:     36
    .vgpr_spill_count: 0
    .wavefront_size: 64
  - .args:
      - .address_space:  global
        .offset:         0
        .size:           8
        .value_kind:     global_buffer
      - .address_space:  global
        .offset:         8
        .size:           8
        .value_kind:     global_buffer
    .group_segment_fixed_size: 0
    .kernarg_segment_align: 8
    .kernarg_segment_size: 16
    .language:       OpenCL C
    .language_version:
      - 2
      - 0
    .max_flat_workgroup_size: 1024
    .name:           _Z12geglu_kernelIffLi160ELi5120ELi8ELi1EEvPT_PKS0_
    .private_segment_fixed_size: 0
    .sgpr_count:     13
    .sgpr_spill_count: 0
    .symbol:         _Z12geglu_kernelIffLi160ELi5120ELi8ELi1EEvPT_PKS0_.kd
    .uniform_work_group_size: 1
    .uses_dynamic_stack: false
    .vgpr_count:     36
    .vgpr_spill_count: 0
    .wavefront_size: 64
  - .args:
      - .address_space:  global
        .offset:         0
        .size:           8
        .value_kind:     global_buffer
      - .address_space:  global
        .offset:         8
        .size:           8
        .value_kind:     global_buffer
    .group_segment_fixed_size: 0
    .kernarg_segment_align: 8
    .kernarg_segment_size: 16
    .language:       OpenCL C
    .language_version:
      - 2
      - 0
    .max_flat_workgroup_size: 1024
    .name:           _Z12geglu_kernelIffLi160ELi1280ELi8ELi2EEvPT_PKS0_
    .private_segment_fixed_size: 20
    .sgpr_count:     16
    .sgpr_spill_count: 0
    .symbol:         _Z12geglu_kernelIffLi160ELi1280ELi8ELi2EEvPT_PKS0_.kd
    .uniform_work_group_size: 1
    .uses_dynamic_stack: false
    .vgpr_count:     64
    .vgpr_spill_count: 8
    .wavefront_size: 64
  - .args:
      - .address_space:  global
        .offset:         0
        .size:           8
        .value_kind:     global_buffer
      - .address_space:  global
        .offset:         8
        .size:           8
        .value_kind:     global_buffer
    .group_segment_fixed_size: 0
    .kernarg_segment_align: 8
    .kernarg_segment_size: 16
    .language:       OpenCL C
    .language_version:
      - 2
      - 0
    .max_flat_workgroup_size: 1024
    .name:           _Z12geglu_kernelIffLi160ELi2560ELi8ELi2EEvPT_PKS0_
    .private_segment_fixed_size: 20
    .sgpr_count:     20
    .sgpr_spill_count: 0
    .symbol:         _Z12geglu_kernelIffLi160ELi2560ELi8ELi2EEvPT_PKS0_.kd
    .uniform_work_group_size: 1
    .uses_dynamic_stack: false
    .vgpr_count:     64
    .vgpr_spill_count: 8
    .wavefront_size: 64
  - .args:
      - .address_space:  global
        .offset:         0
        .size:           8
        .value_kind:     global_buffer
      - .address_space:  global
        .offset:         8
        .size:           8
        .value_kind:     global_buffer
    .group_segment_fixed_size: 0
    .kernarg_segment_align: 8
    .kernarg_segment_size: 16
    .language:       OpenCL C
    .language_version:
      - 2
      - 0
    .max_flat_workgroup_size: 1024
    .name:           _Z12geglu_kernelIffLi160ELi5120ELi8ELi2EEvPT_PKS0_
    .private_segment_fixed_size: 36
    .sgpr_count:     20
    .sgpr_spill_count: 0
    .symbol:         _Z12geglu_kernelIffLi160ELi5120ELi8ELi2EEvPT_PKS0_.kd
    .uniform_work_group_size: 1
    .uses_dynamic_stack: false
    .vgpr_count:     64
    .vgpr_spill_count: 12
    .wavefront_size: 64
amdhsa.target:   amdgcn-amd-amdhsa--gfx906
amdhsa.version:
  - 1
  - 2
...

	.end_amdgpu_metadata
